;; amdgpu-corpus repo=LLNL/RAJAPerf kind=compiled arch=gfx1100 opt=O3
	.text
	.amdgcn_target "amdgcn-amd-amdhsa--gfx1100"
	.amdhsa_code_object_version 6
	.section	.text._ZN7rocprim6detail31init_lookback_scan_state_kernelINS0_19lookback_scan_stateIdLb1ELb1EEEEEvT_jjPNS4_10value_typeE,"axG",@progbits,_ZN7rocprim6detail31init_lookback_scan_state_kernelINS0_19lookback_scan_stateIdLb1ELb1EEEEEvT_jjPNS4_10value_typeE,comdat
	.protected	_ZN7rocprim6detail31init_lookback_scan_state_kernelINS0_19lookback_scan_stateIdLb1ELb1EEEEEvT_jjPNS4_10value_typeE ; -- Begin function _ZN7rocprim6detail31init_lookback_scan_state_kernelINS0_19lookback_scan_stateIdLb1ELb1EEEEEvT_jjPNS4_10value_typeE
	.globl	_ZN7rocprim6detail31init_lookback_scan_state_kernelINS0_19lookback_scan_stateIdLb1ELb1EEEEEvT_jjPNS4_10value_typeE
	.p2align	8
	.type	_ZN7rocprim6detail31init_lookback_scan_state_kernelINS0_19lookback_scan_stateIdLb1ELb1EEEEEvT_jjPNS4_10value_typeE,@function
_ZN7rocprim6detail31init_lookback_scan_state_kernelINS0_19lookback_scan_stateIdLb1ELb1EEEEEvT_jjPNS4_10value_typeE: ; @_ZN7rocprim6detail31init_lookback_scan_state_kernelINS0_19lookback_scan_stateIdLb1ELb1EEEEEvT_jjPNS4_10value_typeE
; %bb.0:
	s_clause 0x2
	s_load_b32 s6, s[0:1], 0x24
	s_load_b64 s[4:5], s[0:1], 0x10
	s_load_b128 s[0:3], s[0:1], 0x0
	s_waitcnt lgkmcnt(0)
	s_and_b32 s6, s6, 0xffff
	s_cmp_eq_u64 s[4:5], 0
	v_mad_u64_u32 v[1:2], null, s15, s6, v[0:1]
	s_cbranch_scc1 .LBB0_10
; %bb.1:
	s_cmp_lt_u32 s3, s2
	s_mov_b32 s7, 0
	s_cselect_b32 s6, s3, 0
	s_mov_b32 s8, exec_lo
	s_delay_alu instid0(VALU_DEP_1)
	v_cmpx_eq_u32_e64 s6, v1
	s_cbranch_execz .LBB0_9
; %bb.2:
	s_add_i32 s6, s3, 32
	s_mov_b32 s3, exec_lo
	s_lshl_b64 s[6:7], s[6:7], 4
	v_mov_b32_e32 v6, 0
	s_add_u32 s6, s0, s6
	s_addc_u32 s7, s1, s7
	s_delay_alu instid0(SALU_CYCLE_1) | instskip(SKIP_2) | instid1(VALU_DEP_1)
	v_dual_mov_b32 v2, s6 :: v_dual_mov_b32 v3, s7
	;;#ASMSTART
	global_load_dwordx4 v[2:5], v[2:3] off glc	
s_waitcnt vmcnt(0)
	;;#ASMEND
	v_and_b32_e32 v5, 0xff, v4
	v_cmpx_eq_u64_e32 0, v[5:6]
	s_cbranch_execz .LBB0_8
; %bb.3:
	v_dual_mov_b32 v8, s7 :: v_dual_mov_b32 v7, s6
	s_mov_b32 s7, 1
	s_mov_b32 s6, 0
	.p2align	6
.LBB0_4:                                ; =>This Loop Header: Depth=1
                                        ;     Child Loop BB0_5 Depth 2
	s_max_u32 s9, s7, 1
.LBB0_5:                                ;   Parent Loop BB0_4 Depth=1
                                        ; =>  This Inner Loop Header: Depth=2
	s_delay_alu instid0(SALU_CYCLE_1)
	s_add_i32 s9, s9, -1
	s_sleep 1
	s_cmp_eq_u32 s9, 0
	s_cbranch_scc0 .LBB0_5
; %bb.6:                                ;   in Loop: Header=BB0_4 Depth=1
	;;#ASMSTART
	global_load_dwordx4 v[2:5], v[7:8] off glc	
s_waitcnt vmcnt(0)
	;;#ASMEND
	v_and_b32_e32 v5, 0xff, v4
	s_cmp_lt_u32 s7, 32
	s_cselect_b32 s9, -1, 0
	s_delay_alu instid0(SALU_CYCLE_1) | instskip(NEXT) | instid1(VALU_DEP_1)
	s_cmp_lg_u32 s9, 0
	v_cmp_ne_u64_e32 vcc_lo, 0, v[5:6]
	s_addc_u32 s7, s7, 0
	s_or_b32 s6, vcc_lo, s6
	s_delay_alu instid0(SALU_CYCLE_1)
	s_and_not1_b32 exec_lo, exec_lo, s6
	s_cbranch_execnz .LBB0_4
; %bb.7:
	s_or_b32 exec_lo, exec_lo, s6
.LBB0_8:
	s_delay_alu instid0(SALU_CYCLE_1)
	s_or_b32 exec_lo, exec_lo, s3
	v_mov_b32_e32 v0, 0
	global_store_b64 v0, v[2:3], s[4:5]
.LBB0_9:
	s_or_b32 exec_lo, exec_lo, s8
.LBB0_10:
	s_delay_alu instid0(VALU_DEP_1)
	v_cmp_gt_u32_e32 vcc_lo, s2, v1
	s_and_saveexec_b32 s2, vcc_lo
	s_cbranch_execz .LBB0_12
; %bb.11:
	v_dual_mov_b32 v3, 0 :: v_dual_add_nc_u32 v2, 32, v1
	s_delay_alu instid0(VALU_DEP_1) | instskip(SKIP_2) | instid1(VALU_DEP_3)
	v_lshlrev_b64 v[5:6], 4, v[2:3]
	v_mov_b32_e32 v2, v3
	v_mov_b32_e32 v4, v3
	v_add_co_u32 v7, vcc_lo, s0, v5
	s_delay_alu instid0(VALU_DEP_4)
	v_add_co_ci_u32_e32 v8, vcc_lo, s1, v6, vcc_lo
	v_mov_b32_e32 v5, v3
	global_store_b128 v[7:8], v[2:5], off
.LBB0_12:
	s_or_b32 exec_lo, exec_lo, s2
	s_delay_alu instid0(SALU_CYCLE_1)
	s_mov_b32 s2, exec_lo
	v_cmpx_gt_u32_e32 32, v1
	s_cbranch_execz .LBB0_14
; %bb.13:
	v_dual_mov_b32 v2, 0 :: v_dual_mov_b32 v3, 0xff
	s_delay_alu instid0(VALU_DEP_1) | instskip(SKIP_1) | instid1(VALU_DEP_2)
	v_lshlrev_b64 v[4:5], 4, v[1:2]
	v_mov_b32_e32 v1, v2
	v_add_co_u32 v6, vcc_lo, s0, v4
	s_delay_alu instid0(VALU_DEP_3)
	v_add_co_ci_u32_e32 v7, vcc_lo, s1, v5, vcc_lo
	v_mov_b32_e32 v4, v2
	global_store_b128 v[6:7], v[1:4], off
.LBB0_14:
	s_nop 0
	s_sendmsg sendmsg(MSG_DEALLOC_VGPRS)
	s_endpgm
	.section	.rodata,"a",@progbits
	.p2align	6, 0x0
	.amdhsa_kernel _ZN7rocprim6detail31init_lookback_scan_state_kernelINS0_19lookback_scan_stateIdLb1ELb1EEEEEvT_jjPNS4_10value_typeE
		.amdhsa_group_segment_fixed_size 0
		.amdhsa_private_segment_fixed_size 0
		.amdhsa_kernarg_size 280
		.amdhsa_user_sgpr_count 15
		.amdhsa_user_sgpr_dispatch_ptr 0
		.amdhsa_user_sgpr_queue_ptr 0
		.amdhsa_user_sgpr_kernarg_segment_ptr 1
		.amdhsa_user_sgpr_dispatch_id 0
		.amdhsa_user_sgpr_private_segment_size 0
		.amdhsa_wavefront_size32 1
		.amdhsa_uses_dynamic_stack 0
		.amdhsa_enable_private_segment 0
		.amdhsa_system_sgpr_workgroup_id_x 1
		.amdhsa_system_sgpr_workgroup_id_y 0
		.amdhsa_system_sgpr_workgroup_id_z 0
		.amdhsa_system_sgpr_workgroup_info 0
		.amdhsa_system_vgpr_workitem_id 0
		.amdhsa_next_free_vgpr 9
		.amdhsa_next_free_sgpr 16
		.amdhsa_reserve_vcc 1
		.amdhsa_float_round_mode_32 0
		.amdhsa_float_round_mode_16_64 0
		.amdhsa_float_denorm_mode_32 3
		.amdhsa_float_denorm_mode_16_64 3
		.amdhsa_dx10_clamp 1
		.amdhsa_ieee_mode 1
		.amdhsa_fp16_overflow 0
		.amdhsa_workgroup_processor_mode 1
		.amdhsa_memory_ordered 1
		.amdhsa_forward_progress 0
		.amdhsa_shared_vgpr_count 0
		.amdhsa_exception_fp_ieee_invalid_op 0
		.amdhsa_exception_fp_denorm_src 0
		.amdhsa_exception_fp_ieee_div_zero 0
		.amdhsa_exception_fp_ieee_overflow 0
		.amdhsa_exception_fp_ieee_underflow 0
		.amdhsa_exception_fp_ieee_inexact 0
		.amdhsa_exception_int_div_zero 0
	.end_amdhsa_kernel
	.section	.text._ZN7rocprim6detail31init_lookback_scan_state_kernelINS0_19lookback_scan_stateIdLb1ELb1EEEEEvT_jjPNS4_10value_typeE,"axG",@progbits,_ZN7rocprim6detail31init_lookback_scan_state_kernelINS0_19lookback_scan_stateIdLb1ELb1EEEEEvT_jjPNS4_10value_typeE,comdat
.Lfunc_end0:
	.size	_ZN7rocprim6detail31init_lookback_scan_state_kernelINS0_19lookback_scan_stateIdLb1ELb1EEEEEvT_jjPNS4_10value_typeE, .Lfunc_end0-_ZN7rocprim6detail31init_lookback_scan_state_kernelINS0_19lookback_scan_stateIdLb1ELb1EEEEEvT_jjPNS4_10value_typeE
                                        ; -- End function
	.section	.AMDGPU.csdata,"",@progbits
; Kernel info:
; codeLenInByte = 496
; NumSgprs: 18
; NumVgprs: 9
; ScratchSize: 0
; MemoryBound: 0
; FloatMode: 240
; IeeeMode: 1
; LDSByteSize: 0 bytes/workgroup (compile time only)
; SGPRBlocks: 2
; VGPRBlocks: 1
; NumSGPRsForWavesPerEU: 18
; NumVGPRsForWavesPerEU: 9
; Occupancy: 16
; WaveLimiterHint : 0
; COMPUTE_PGM_RSRC2:SCRATCH_EN: 0
; COMPUTE_PGM_RSRC2:USER_SGPR: 15
; COMPUTE_PGM_RSRC2:TRAP_HANDLER: 0
; COMPUTE_PGM_RSRC2:TGID_X_EN: 1
; COMPUTE_PGM_RSRC2:TGID_Y_EN: 0
; COMPUTE_PGM_RSRC2:TGID_Z_EN: 0
; COMPUTE_PGM_RSRC2:TIDIG_COMP_CNT: 0
	.section	.text._ZN7rocprim6detail31init_lookback_scan_state_kernelINS0_19lookback_scan_stateIdLb0ELb1EEEEEvT_jjPNS4_10value_typeE,"axG",@progbits,_ZN7rocprim6detail31init_lookback_scan_state_kernelINS0_19lookback_scan_stateIdLb0ELb1EEEEEvT_jjPNS4_10value_typeE,comdat
	.protected	_ZN7rocprim6detail31init_lookback_scan_state_kernelINS0_19lookback_scan_stateIdLb0ELb1EEEEEvT_jjPNS4_10value_typeE ; -- Begin function _ZN7rocprim6detail31init_lookback_scan_state_kernelINS0_19lookback_scan_stateIdLb0ELb1EEEEEvT_jjPNS4_10value_typeE
	.globl	_ZN7rocprim6detail31init_lookback_scan_state_kernelINS0_19lookback_scan_stateIdLb0ELb1EEEEEvT_jjPNS4_10value_typeE
	.p2align	8
	.type	_ZN7rocprim6detail31init_lookback_scan_state_kernelINS0_19lookback_scan_stateIdLb0ELb1EEEEEvT_jjPNS4_10value_typeE,@function
_ZN7rocprim6detail31init_lookback_scan_state_kernelINS0_19lookback_scan_stateIdLb0ELb1EEEEEvT_jjPNS4_10value_typeE: ; @_ZN7rocprim6detail31init_lookback_scan_state_kernelINS0_19lookback_scan_stateIdLb0ELb1EEEEEvT_jjPNS4_10value_typeE
; %bb.0:
	s_clause 0x2
	s_load_b32 s6, s[0:1], 0x24
	s_load_b64 s[4:5], s[0:1], 0x10
	s_load_b128 s[0:3], s[0:1], 0x0
	s_waitcnt lgkmcnt(0)
	s_and_b32 s6, s6, 0xffff
	s_cmp_eq_u64 s[4:5], 0
	v_mad_u64_u32 v[1:2], null, s15, s6, v[0:1]
	s_cbranch_scc1 .LBB1_8
; %bb.1:
	s_cmp_lt_u32 s3, s2
	s_mov_b32 s7, 0
	s_cselect_b32 s6, s3, 0
	s_mov_b32 s8, exec_lo
	s_delay_alu instid0(VALU_DEP_1)
	v_cmpx_eq_u32_e64 s6, v1
	s_cbranch_execz .LBB1_7
; %bb.2:
	s_add_i32 s6, s3, 32
	s_mov_b32 s3, exec_lo
	s_lshl_b64 s[6:7], s[6:7], 4
	v_mov_b32_e32 v6, 0
	s_add_u32 s6, s0, s6
	s_addc_u32 s7, s1, s7
	s_delay_alu instid0(SALU_CYCLE_1) | instskip(SKIP_2) | instid1(VALU_DEP_1)
	v_dual_mov_b32 v2, s6 :: v_dual_mov_b32 v3, s7
	;;#ASMSTART
	global_load_dwordx4 v[2:5], v[2:3] off glc	
s_waitcnt vmcnt(0)
	;;#ASMEND
	v_and_b32_e32 v5, 0xff, v4
	v_cmpx_eq_u64_e32 0, v[5:6]
	s_cbranch_execz .LBB1_6
; %bb.3:
	v_dual_mov_b32 v8, s7 :: v_dual_mov_b32 v7, s6
	s_mov_b32 s6, 0
.LBB1_4:                                ; =>This Inner Loop Header: Depth=1
	;;#ASMSTART
	global_load_dwordx4 v[2:5], v[7:8] off glc	
s_waitcnt vmcnt(0)
	;;#ASMEND
	v_and_b32_e32 v5, 0xff, v4
	s_delay_alu instid0(VALU_DEP_1) | instskip(SKIP_1) | instid1(SALU_CYCLE_1)
	v_cmp_ne_u64_e32 vcc_lo, 0, v[5:6]
	s_or_b32 s6, vcc_lo, s6
	s_and_not1_b32 exec_lo, exec_lo, s6
	s_cbranch_execnz .LBB1_4
; %bb.5:
	s_or_b32 exec_lo, exec_lo, s6
.LBB1_6:
	s_delay_alu instid0(SALU_CYCLE_1)
	s_or_b32 exec_lo, exec_lo, s3
	v_mov_b32_e32 v0, 0
	global_store_b64 v0, v[2:3], s[4:5]
.LBB1_7:
	s_or_b32 exec_lo, exec_lo, s8
.LBB1_8:
	s_delay_alu instid0(VALU_DEP_1)
	v_cmp_gt_u32_e32 vcc_lo, s2, v1
	s_and_saveexec_b32 s2, vcc_lo
	s_cbranch_execz .LBB1_10
; %bb.9:
	v_dual_mov_b32 v3, 0 :: v_dual_add_nc_u32 v2, 32, v1
	s_delay_alu instid0(VALU_DEP_1) | instskip(SKIP_2) | instid1(VALU_DEP_3)
	v_lshlrev_b64 v[5:6], 4, v[2:3]
	v_mov_b32_e32 v2, v3
	v_mov_b32_e32 v4, v3
	v_add_co_u32 v7, vcc_lo, s0, v5
	s_delay_alu instid0(VALU_DEP_4)
	v_add_co_ci_u32_e32 v8, vcc_lo, s1, v6, vcc_lo
	v_mov_b32_e32 v5, v3
	global_store_b128 v[7:8], v[2:5], off
.LBB1_10:
	s_or_b32 exec_lo, exec_lo, s2
	s_delay_alu instid0(SALU_CYCLE_1)
	s_mov_b32 s2, exec_lo
	v_cmpx_gt_u32_e32 32, v1
	s_cbranch_execz .LBB1_12
; %bb.11:
	v_dual_mov_b32 v2, 0 :: v_dual_mov_b32 v3, 0xff
	s_delay_alu instid0(VALU_DEP_1) | instskip(SKIP_1) | instid1(VALU_DEP_2)
	v_lshlrev_b64 v[4:5], 4, v[1:2]
	v_mov_b32_e32 v1, v2
	v_add_co_u32 v6, vcc_lo, s0, v4
	s_delay_alu instid0(VALU_DEP_3)
	v_add_co_ci_u32_e32 v7, vcc_lo, s1, v5, vcc_lo
	v_mov_b32_e32 v4, v2
	global_store_b128 v[6:7], v[1:4], off
.LBB1_12:
	s_nop 0
	s_sendmsg sendmsg(MSG_DEALLOC_VGPRS)
	s_endpgm
	.section	.rodata,"a",@progbits
	.p2align	6, 0x0
	.amdhsa_kernel _ZN7rocprim6detail31init_lookback_scan_state_kernelINS0_19lookback_scan_stateIdLb0ELb1EEEEEvT_jjPNS4_10value_typeE
		.amdhsa_group_segment_fixed_size 0
		.amdhsa_private_segment_fixed_size 0
		.amdhsa_kernarg_size 280
		.amdhsa_user_sgpr_count 15
		.amdhsa_user_sgpr_dispatch_ptr 0
		.amdhsa_user_sgpr_queue_ptr 0
		.amdhsa_user_sgpr_kernarg_segment_ptr 1
		.amdhsa_user_sgpr_dispatch_id 0
		.amdhsa_user_sgpr_private_segment_size 0
		.amdhsa_wavefront_size32 1
		.amdhsa_uses_dynamic_stack 0
		.amdhsa_enable_private_segment 0
		.amdhsa_system_sgpr_workgroup_id_x 1
		.amdhsa_system_sgpr_workgroup_id_y 0
		.amdhsa_system_sgpr_workgroup_id_z 0
		.amdhsa_system_sgpr_workgroup_info 0
		.amdhsa_system_vgpr_workitem_id 0
		.amdhsa_next_free_vgpr 9
		.amdhsa_next_free_sgpr 16
		.amdhsa_reserve_vcc 1
		.amdhsa_float_round_mode_32 0
		.amdhsa_float_round_mode_16_64 0
		.amdhsa_float_denorm_mode_32 3
		.amdhsa_float_denorm_mode_16_64 3
		.amdhsa_dx10_clamp 1
		.amdhsa_ieee_mode 1
		.amdhsa_fp16_overflow 0
		.amdhsa_workgroup_processor_mode 1
		.amdhsa_memory_ordered 1
		.amdhsa_forward_progress 0
		.amdhsa_shared_vgpr_count 0
		.amdhsa_exception_fp_ieee_invalid_op 0
		.amdhsa_exception_fp_denorm_src 0
		.amdhsa_exception_fp_ieee_div_zero 0
		.amdhsa_exception_fp_ieee_overflow 0
		.amdhsa_exception_fp_ieee_underflow 0
		.amdhsa_exception_fp_ieee_inexact 0
		.amdhsa_exception_int_div_zero 0
	.end_amdhsa_kernel
	.section	.text._ZN7rocprim6detail31init_lookback_scan_state_kernelINS0_19lookback_scan_stateIdLb0ELb1EEEEEvT_jjPNS4_10value_typeE,"axG",@progbits,_ZN7rocprim6detail31init_lookback_scan_state_kernelINS0_19lookback_scan_stateIdLb0ELb1EEEEEvT_jjPNS4_10value_typeE,comdat
.Lfunc_end1:
	.size	_ZN7rocprim6detail31init_lookback_scan_state_kernelINS0_19lookback_scan_stateIdLb0ELb1EEEEEvT_jjPNS4_10value_typeE, .Lfunc_end1-_ZN7rocprim6detail31init_lookback_scan_state_kernelINS0_19lookback_scan_stateIdLb0ELb1EEEEEvT_jjPNS4_10value_typeE
                                        ; -- End function
	.section	.AMDGPU.csdata,"",@progbits
; Kernel info:
; codeLenInByte = 448
; NumSgprs: 18
; NumVgprs: 9
; ScratchSize: 0
; MemoryBound: 0
; FloatMode: 240
; IeeeMode: 1
; LDSByteSize: 0 bytes/workgroup (compile time only)
; SGPRBlocks: 2
; VGPRBlocks: 1
; NumSGPRsForWavesPerEU: 18
; NumVGPRsForWavesPerEU: 9
; Occupancy: 16
; WaveLimiterHint : 0
; COMPUTE_PGM_RSRC2:SCRATCH_EN: 0
; COMPUTE_PGM_RSRC2:USER_SGPR: 15
; COMPUTE_PGM_RSRC2:TRAP_HANDLER: 0
; COMPUTE_PGM_RSRC2:TGID_X_EN: 1
; COMPUTE_PGM_RSRC2:TGID_Y_EN: 0
; COMPUTE_PGM_RSRC2:TGID_Z_EN: 0
; COMPUTE_PGM_RSRC2:TIDIG_COMP_CNT: 0
	.section	.text._ZN7rocprim6detail20lookback_scan_kernelILNS0_25lookback_scan_determinismE0ELb1ENS0_19wrapped_scan_configINS_14default_configEdEEPdS6_N4RAJA9operators4plusIdddEEddNS0_19lookback_scan_stateIdLb1ELb1EEEEEvT2_T3_mT5_T4_T7_jPT6_SJ_bb,"axG",@progbits,_ZN7rocprim6detail20lookback_scan_kernelILNS0_25lookback_scan_determinismE0ELb1ENS0_19wrapped_scan_configINS_14default_configEdEEPdS6_N4RAJA9operators4plusIdddEEddNS0_19lookback_scan_stateIdLb1ELb1EEEEEvT2_T3_mT5_T4_T7_jPT6_SJ_bb,comdat
	.protected	_ZN7rocprim6detail20lookback_scan_kernelILNS0_25lookback_scan_determinismE0ELb1ENS0_19wrapped_scan_configINS_14default_configEdEEPdS6_N4RAJA9operators4plusIdddEEddNS0_19lookback_scan_stateIdLb1ELb1EEEEEvT2_T3_mT5_T4_T7_jPT6_SJ_bb ; -- Begin function _ZN7rocprim6detail20lookback_scan_kernelILNS0_25lookback_scan_determinismE0ELb1ENS0_19wrapped_scan_configINS_14default_configEdEEPdS6_N4RAJA9operators4plusIdddEEddNS0_19lookback_scan_stateIdLb1ELb1EEEEEvT2_T3_mT5_T4_T7_jPT6_SJ_bb
	.globl	_ZN7rocprim6detail20lookback_scan_kernelILNS0_25lookback_scan_determinismE0ELb1ENS0_19wrapped_scan_configINS_14default_configEdEEPdS6_N4RAJA9operators4plusIdddEEddNS0_19lookback_scan_stateIdLb1ELb1EEEEEvT2_T3_mT5_T4_T7_jPT6_SJ_bb
	.p2align	8
	.type	_ZN7rocprim6detail20lookback_scan_kernelILNS0_25lookback_scan_determinismE0ELb1ENS0_19wrapped_scan_configINS_14default_configEdEEPdS6_N4RAJA9operators4plusIdddEEddNS0_19lookback_scan_stateIdLb1ELb1EEEEEvT2_T3_mT5_T4_T7_jPT6_SJ_bb,@function
_ZN7rocprim6detail20lookback_scan_kernelILNS0_25lookback_scan_determinismE0ELb1ENS0_19wrapped_scan_configINS_14default_configEdEEPdS6_N4RAJA9operators4plusIdddEEddNS0_19lookback_scan_stateIdLb1ELb1EEEEEvT2_T3_mT5_T4_T7_jPT6_SJ_bb: ; @_ZN7rocprim6detail20lookback_scan_kernelILNS0_25lookback_scan_determinismE0ELb1ENS0_19wrapped_scan_configINS_14default_configEdEEPdS6_N4RAJA9operators4plusIdddEEddNS0_19lookback_scan_stateIdLb1ELb1EEEEEvT2_T3_mT5_T4_T7_jPT6_SJ_bb
; %bb.0:
	s_endpgm
	.section	.rodata,"a",@progbits
	.p2align	6, 0x0
	.amdhsa_kernel _ZN7rocprim6detail20lookback_scan_kernelILNS0_25lookback_scan_determinismE0ELb1ENS0_19wrapped_scan_configINS_14default_configEdEEPdS6_N4RAJA9operators4plusIdddEEddNS0_19lookback_scan_stateIdLb1ELb1EEEEEvT2_T3_mT5_T4_T7_jPT6_SJ_bb
		.amdhsa_group_segment_fixed_size 0
		.amdhsa_private_segment_fixed_size 0
		.amdhsa_kernarg_size 76
		.amdhsa_user_sgpr_count 15
		.amdhsa_user_sgpr_dispatch_ptr 0
		.amdhsa_user_sgpr_queue_ptr 0
		.amdhsa_user_sgpr_kernarg_segment_ptr 1
		.amdhsa_user_sgpr_dispatch_id 0
		.amdhsa_user_sgpr_private_segment_size 0
		.amdhsa_wavefront_size32 1
		.amdhsa_uses_dynamic_stack 0
		.amdhsa_enable_private_segment 0
		.amdhsa_system_sgpr_workgroup_id_x 1
		.amdhsa_system_sgpr_workgroup_id_y 0
		.amdhsa_system_sgpr_workgroup_id_z 0
		.amdhsa_system_sgpr_workgroup_info 0
		.amdhsa_system_vgpr_workitem_id 0
		.amdhsa_next_free_vgpr 1
		.amdhsa_next_free_sgpr 1
		.amdhsa_reserve_vcc 0
		.amdhsa_float_round_mode_32 0
		.amdhsa_float_round_mode_16_64 0
		.amdhsa_float_denorm_mode_32 3
		.amdhsa_float_denorm_mode_16_64 3
		.amdhsa_dx10_clamp 1
		.amdhsa_ieee_mode 1
		.amdhsa_fp16_overflow 0
		.amdhsa_workgroup_processor_mode 1
		.amdhsa_memory_ordered 1
		.amdhsa_forward_progress 0
		.amdhsa_shared_vgpr_count 0
		.amdhsa_exception_fp_ieee_invalid_op 0
		.amdhsa_exception_fp_denorm_src 0
		.amdhsa_exception_fp_ieee_div_zero 0
		.amdhsa_exception_fp_ieee_overflow 0
		.amdhsa_exception_fp_ieee_underflow 0
		.amdhsa_exception_fp_ieee_inexact 0
		.amdhsa_exception_int_div_zero 0
	.end_amdhsa_kernel
	.section	.text._ZN7rocprim6detail20lookback_scan_kernelILNS0_25lookback_scan_determinismE0ELb1ENS0_19wrapped_scan_configINS_14default_configEdEEPdS6_N4RAJA9operators4plusIdddEEddNS0_19lookback_scan_stateIdLb1ELb1EEEEEvT2_T3_mT5_T4_T7_jPT6_SJ_bb,"axG",@progbits,_ZN7rocprim6detail20lookback_scan_kernelILNS0_25lookback_scan_determinismE0ELb1ENS0_19wrapped_scan_configINS_14default_configEdEEPdS6_N4RAJA9operators4plusIdddEEddNS0_19lookback_scan_stateIdLb1ELb1EEEEEvT2_T3_mT5_T4_T7_jPT6_SJ_bb,comdat
.Lfunc_end2:
	.size	_ZN7rocprim6detail20lookback_scan_kernelILNS0_25lookback_scan_determinismE0ELb1ENS0_19wrapped_scan_configINS_14default_configEdEEPdS6_N4RAJA9operators4plusIdddEEddNS0_19lookback_scan_stateIdLb1ELb1EEEEEvT2_T3_mT5_T4_T7_jPT6_SJ_bb, .Lfunc_end2-_ZN7rocprim6detail20lookback_scan_kernelILNS0_25lookback_scan_determinismE0ELb1ENS0_19wrapped_scan_configINS_14default_configEdEEPdS6_N4RAJA9operators4plusIdddEEddNS0_19lookback_scan_stateIdLb1ELb1EEEEEvT2_T3_mT5_T4_T7_jPT6_SJ_bb
                                        ; -- End function
	.section	.AMDGPU.csdata,"",@progbits
; Kernel info:
; codeLenInByte = 4
; NumSgprs: 0
; NumVgprs: 0
; ScratchSize: 0
; MemoryBound: 0
; FloatMode: 240
; IeeeMode: 1
; LDSByteSize: 0 bytes/workgroup (compile time only)
; SGPRBlocks: 0
; VGPRBlocks: 0
; NumSGPRsForWavesPerEU: 1
; NumVGPRsForWavesPerEU: 1
; Occupancy: 16
; WaveLimiterHint : 0
; COMPUTE_PGM_RSRC2:SCRATCH_EN: 0
; COMPUTE_PGM_RSRC2:USER_SGPR: 15
; COMPUTE_PGM_RSRC2:TRAP_HANDLER: 0
; COMPUTE_PGM_RSRC2:TGID_X_EN: 1
; COMPUTE_PGM_RSRC2:TGID_Y_EN: 0
; COMPUTE_PGM_RSRC2:TGID_Z_EN: 0
; COMPUTE_PGM_RSRC2:TIDIG_COMP_CNT: 0
	.section	.text._ZN7rocprim6detail20lookback_scan_kernelILNS0_25lookback_scan_determinismE0ELb1ENS0_19wrapped_scan_configINS_14default_configEdEEPdS6_N4RAJA9operators4plusIdddEEddNS0_19lookback_scan_stateIdLb0ELb1EEEEEvT2_T3_mT5_T4_T7_jPT6_SJ_bb,"axG",@progbits,_ZN7rocprim6detail20lookback_scan_kernelILNS0_25lookback_scan_determinismE0ELb1ENS0_19wrapped_scan_configINS_14default_configEdEEPdS6_N4RAJA9operators4plusIdddEEddNS0_19lookback_scan_stateIdLb0ELb1EEEEEvT2_T3_mT5_T4_T7_jPT6_SJ_bb,comdat
	.protected	_ZN7rocprim6detail20lookback_scan_kernelILNS0_25lookback_scan_determinismE0ELb1ENS0_19wrapped_scan_configINS_14default_configEdEEPdS6_N4RAJA9operators4plusIdddEEddNS0_19lookback_scan_stateIdLb0ELb1EEEEEvT2_T3_mT5_T4_T7_jPT6_SJ_bb ; -- Begin function _ZN7rocprim6detail20lookback_scan_kernelILNS0_25lookback_scan_determinismE0ELb1ENS0_19wrapped_scan_configINS_14default_configEdEEPdS6_N4RAJA9operators4plusIdddEEddNS0_19lookback_scan_stateIdLb0ELb1EEEEEvT2_T3_mT5_T4_T7_jPT6_SJ_bb
	.globl	_ZN7rocprim6detail20lookback_scan_kernelILNS0_25lookback_scan_determinismE0ELb1ENS0_19wrapped_scan_configINS_14default_configEdEEPdS6_N4RAJA9operators4plusIdddEEddNS0_19lookback_scan_stateIdLb0ELb1EEEEEvT2_T3_mT5_T4_T7_jPT6_SJ_bb
	.p2align	8
	.type	_ZN7rocprim6detail20lookback_scan_kernelILNS0_25lookback_scan_determinismE0ELb1ENS0_19wrapped_scan_configINS_14default_configEdEEPdS6_N4RAJA9operators4plusIdddEEddNS0_19lookback_scan_stateIdLb0ELb1EEEEEvT2_T3_mT5_T4_T7_jPT6_SJ_bb,@function
_ZN7rocprim6detail20lookback_scan_kernelILNS0_25lookback_scan_determinismE0ELb1ENS0_19wrapped_scan_configINS_14default_configEdEEPdS6_N4RAJA9operators4plusIdddEEddNS0_19lookback_scan_stateIdLb0ELb1EEEEEvT2_T3_mT5_T4_T7_jPT6_SJ_bb: ; @_ZN7rocprim6detail20lookback_scan_kernelILNS0_25lookback_scan_determinismE0ELb1ENS0_19wrapped_scan_configINS_14default_configEdEEPdS6_N4RAJA9operators4plusIdddEEddNS0_19lookback_scan_stateIdLb0ELb1EEEEEvT2_T3_mT5_T4_T7_jPT6_SJ_bb
; %bb.0:
	s_clause 0x1
	s_load_b32 s12, s[0:1], 0x30
	s_load_b256 s[4:11], s[0:1], 0x0
	s_lshl_b32 s2, s15, 12
	s_mov_b32 s3, 0
	v_lshlrev_b32_e32 v84, 3, v0
	v_lshrrev_b32_e32 v37, 2, v0
	v_or_b32_e32 v83, 0x100, v0
	v_or_b32_e32 v82, 0x200, v0
	;; [unrolled: 1-line block ×14, first 2 shown]
	s_waitcnt lgkmcnt(0)
	s_add_i32 s12, s12, -1
	v_or_b32_e32 v69, 0xf00, v0
	s_lshl_b32 s13, s12, 12
	s_delay_alu instid0(SALU_CYCLE_1)
	s_sub_u32 s18, s8, s13
	s_subb_u32 s19, s9, 0
	s_cmp_lg_u32 s15, s12
	s_cselect_b32 s20, -1, 0
	s_lshl_b64 s[8:9], s[2:3], 3
	s_mov_b32 s3, -1
	s_add_u32 s12, s4, s8
	s_addc_u32 s13, s5, s9
	s_and_b32 vcc_lo, exec_lo, s20
	s_cbranch_vccz .LBB3_2
; %bb.1:
	v_add_co_u32 v27, s2, s12, v84
	s_delay_alu instid0(VALU_DEP_1)
	v_add_co_ci_u32_e64 v28, null, s13, 0, s2
	s_clause 0x1
	global_load_b64 v[1:2], v84, s[12:13]
	global_load_b64 v[3:4], v84, s[12:13] offset:2048
	v_add_co_u32 v5, vcc_lo, 0x1000, v27
	v_add_co_ci_u32_e32 v6, vcc_lo, 0, v28, vcc_lo
	v_add_co_u32 v7, vcc_lo, v27, 0x2000
	v_add_co_ci_u32_e32 v8, vcc_lo, 0, v28, vcc_lo
	;; [unrolled: 2-line block ×10, first 2 shown]
	s_clause 0xd
	global_load_b64 v[17:18], v[7:8], off offset:-4096
	global_load_b64 v[7:8], v[7:8], off
	global_load_b64 v[19:20], v[13:14], off offset:-4096
	global_load_b64 v[13:14], v[13:14], off
	global_load_b64 v[5:6], v[5:6], off offset:2048
	global_load_b64 v[9:10], v[9:10], off offset:2048
	;; [unrolled: 1-line block ×4, first 2 shown]
	global_load_b64 v[29:30], v[23:24], off offset:-4096
	global_load_b64 v[21:22], v[21:22], off offset:2048
	global_load_b64 v[23:24], v[23:24], off
	global_load_b64 v[25:26], v[25:26], off offset:2048
	global_load_b64 v[31:32], v[27:28], off
	global_load_b64 v[27:28], v[27:28], off offset:2048
	v_lshrrev_b32_e32 v34, 2, v83
	v_lshrrev_b32_e32 v35, 2, v82
	;; [unrolled: 1-line block ×4, first 2 shown]
	v_and_b32_e32 v33, 56, v37
	v_lshrrev_b32_e32 v39, 2, v79
	v_lshrrev_b32_e32 v40, 2, v78
	;; [unrolled: 1-line block ×11, first 2 shown]
	v_and_b32_e32 v34, 0x78, v34
	v_and_b32_e32 v35, 0xb8, v35
	;; [unrolled: 1-line block ×4, first 2 shown]
	v_add_nc_u32_e32 v33, v33, v84
	v_and_b32_e32 v39, 0x178, v39
	v_and_b32_e32 v40, 0x1b8, v40
	;; [unrolled: 1-line block ×11, first 2 shown]
	v_add_nc_u32_e32 v34, v34, v84
	v_add_nc_u32_e32 v35, v35, v84
	;; [unrolled: 1-line block ×4, first 2 shown]
	s_mov_b32 s3, 0
	v_add_nc_u32_e32 v39, v39, v84
	v_add_nc_u32_e32 v40, v40, v84
	;; [unrolled: 1-line block ×11, first 2 shown]
	s_waitcnt vmcnt(15)
	ds_store_b64 v33, v[1:2]
	s_waitcnt vmcnt(14)
	ds_store_b64 v34, v[3:4] offset:2048
	s_waitcnt vmcnt(13)
	ds_store_b64 v35, v[17:18] offset:4096
	s_waitcnt vmcnt(9)
	ds_store_b64 v36, v[5:6] offset:6144
	ds_store_b64 v38, v[7:8] offset:8192
	s_waitcnt vmcnt(8)
	ds_store_b64 v39, v[9:10] offset:10240
	ds_store_b64 v40, v[19:20] offset:12288
	s_waitcnt vmcnt(7)
	ds_store_b64 v41, v[11:12] offset:14336
	;; [unrolled: 3-line block ×3, first 2 shown]
	s_waitcnt vmcnt(5)
	ds_store_b64 v44, v[29:30] offset:20480
	s_waitcnt vmcnt(4)
	ds_store_b64 v45, v[21:22] offset:22528
	;; [unrolled: 2-line block ×6, first 2 shown]
	s_waitcnt lgkmcnt(0)
	s_barrier
.LBB3_2:
	v_cmp_gt_u32_e64 s2, s18, v0
	s_and_not1_b32 vcc_lo, exec_lo, s3
	s_cbranch_vccnz .LBB3_21
; %bb.3:
	s_load_b64 s[36:37], s[12:13], 0x0
	v_add_co_u32 v35, s3, s12, v84
	s_delay_alu instid0(VALU_DEP_1)
	v_add_co_ci_u32_e64 v36, null, s13, 0, s3
	s_waitcnt lgkmcnt(0)
	s_mov_b32 s38, s36
	s_mov_b32 s39, s37
	;; [unrolled: 1-line block ×30, first 2 shown]
	v_dual_mov_b32 v1, s36 :: v_dual_mov_b32 v2, s37
	v_dual_mov_b32 v3, s38 :: v_dual_mov_b32 v4, s39
	;; [unrolled: 1-line block ×17, first 2 shown]
	s_and_saveexec_b32 s3, s2
	s_cbranch_execnz .LBB3_187
; %bb.4:
	s_or_b32 exec_lo, exec_lo, s3
	s_delay_alu instid0(SALU_CYCLE_1)
	s_mov_b32 s2, exec_lo
	v_cmpx_gt_u32_e64 s18, v83
	s_cbranch_execnz .LBB3_188
.LBB3_5:
	s_or_b32 exec_lo, exec_lo, s2
	s_delay_alu instid0(SALU_CYCLE_1)
	s_mov_b32 s2, exec_lo
	v_cmpx_gt_u32_e64 s18, v82
	s_cbranch_execnz .LBB3_189
.LBB3_6:
	s_or_b32 exec_lo, exec_lo, s2
	s_delay_alu instid0(SALU_CYCLE_1)
	s_mov_b32 s2, exec_lo
	v_cmpx_gt_u32_e64 s18, v81
	s_cbranch_execnz .LBB3_190
.LBB3_7:
	s_or_b32 exec_lo, exec_lo, s2
	s_delay_alu instid0(SALU_CYCLE_1)
	s_mov_b32 s2, exec_lo
	v_cmpx_gt_u32_e64 s18, v80
	s_cbranch_execnz .LBB3_191
.LBB3_8:
	s_or_b32 exec_lo, exec_lo, s2
	s_delay_alu instid0(SALU_CYCLE_1)
	s_mov_b32 s2, exec_lo
	v_cmpx_gt_u32_e64 s18, v79
	s_cbranch_execnz .LBB3_192
.LBB3_9:
	s_or_b32 exec_lo, exec_lo, s2
	s_delay_alu instid0(SALU_CYCLE_1)
	s_mov_b32 s2, exec_lo
	v_cmpx_gt_u32_e64 s18, v78
	s_cbranch_execnz .LBB3_193
.LBB3_10:
	s_or_b32 exec_lo, exec_lo, s2
	s_delay_alu instid0(SALU_CYCLE_1)
	s_mov_b32 s2, exec_lo
	v_cmpx_gt_u32_e64 s18, v77
	s_cbranch_execnz .LBB3_194
.LBB3_11:
	s_or_b32 exec_lo, exec_lo, s2
	s_delay_alu instid0(SALU_CYCLE_1)
	s_mov_b32 s2, exec_lo
	v_cmpx_gt_u32_e64 s18, v76
	s_cbranch_execnz .LBB3_195
.LBB3_12:
	s_or_b32 exec_lo, exec_lo, s2
	s_delay_alu instid0(SALU_CYCLE_1)
	s_mov_b32 s2, exec_lo
	v_cmpx_gt_u32_e64 s18, v75
	s_cbranch_execnz .LBB3_196
.LBB3_13:
	s_or_b32 exec_lo, exec_lo, s2
	s_delay_alu instid0(SALU_CYCLE_1)
	s_mov_b32 s2, exec_lo
	v_cmpx_gt_u32_e64 s18, v74
	s_cbranch_execnz .LBB3_197
.LBB3_14:
	s_or_b32 exec_lo, exec_lo, s2
	s_delay_alu instid0(SALU_CYCLE_1)
	s_mov_b32 s2, exec_lo
	v_cmpx_gt_u32_e64 s18, v73
	s_cbranch_execnz .LBB3_198
.LBB3_15:
	s_or_b32 exec_lo, exec_lo, s2
	s_delay_alu instid0(SALU_CYCLE_1)
	s_mov_b32 s2, exec_lo
	v_cmpx_gt_u32_e64 s18, v72
	s_cbranch_execnz .LBB3_199
.LBB3_16:
	s_or_b32 exec_lo, exec_lo, s2
	s_delay_alu instid0(SALU_CYCLE_1)
	s_mov_b32 s2, exec_lo
	v_cmpx_gt_u32_e64 s18, v71
	s_cbranch_execnz .LBB3_200
.LBB3_17:
	s_or_b32 exec_lo, exec_lo, s2
	s_delay_alu instid0(SALU_CYCLE_1)
	s_mov_b32 s2, exec_lo
	v_cmpx_gt_u32_e64 s18, v70
	s_cbranch_execnz .LBB3_201
.LBB3_18:
	s_or_b32 exec_lo, exec_lo, s2
	s_delay_alu instid0(SALU_CYCLE_1)
	s_mov_b32 s2, exec_lo
	v_cmpx_gt_u32_e64 s18, v69
	s_cbranch_execz .LBB3_20
.LBB3_19:
	v_add_co_u32 v1, vcc_lo, 0x7000, v35
	v_add_co_ci_u32_e32 v2, vcc_lo, 0, v36, vcc_lo
	global_load_b64 v[31:32], v[1:2], off offset:2048
.LBB3_20:
	s_or_b32 exec_lo, exec_lo, s2
	v_lshrrev_b32_e32 v1, 2, v83
	v_lshrrev_b32_e32 v2, 2, v82
	;; [unrolled: 1-line block ×3, first 2 shown]
	v_and_b32_e32 v36, 56, v37
	v_lshrrev_b32_e32 v37, 2, v80
	v_and_b32_e32 v1, 0x78, v1
	v_and_b32_e32 v2, 0xf8, v2
	;; [unrolled: 1-line block ×3, first 2 shown]
	v_lshrrev_b32_e32 v38, 2, v79
	v_add_nc_u32_e32 v36, v36, v84
	v_add_nc_u32_e32 v1, v1, v84
	v_lshrrev_b32_e32 v39, 2, v78
	v_add_nc_u32_e32 v2, v2, v84
	v_lshrrev_b32_e32 v40, 2, v77
	v_add_nc_u32_e32 v35, v35, v84
	v_and_b32_e32 v37, 0x1f8, v37
	v_and_b32_e32 v38, 0x1f8, v38
	s_waitcnt vmcnt(0)
	ds_store_b64 v36, v[33:34]
	ds_store_b64 v1, v[3:4] offset:2048
	ds_store_b64 v2, v[5:6] offset:4096
	;; [unrolled: 1-line block ×3, first 2 shown]
	v_lshrrev_b32_e32 v5, 2, v76
	v_and_b32_e32 v3, 0x1f8, v39
	v_lshrrev_b32_e32 v6, 2, v75
	v_lshrrev_b32_e32 v7, 2, v74
	v_and_b32_e32 v4, 0x1f8, v40
	v_add_nc_u32_e32 v1, v37, v84
	v_add_nc_u32_e32 v2, v38, v84
	v_and_b32_e32 v5, 0x3f8, v5
	v_add_nc_u32_e32 v3, v3, v84
	v_and_b32_e32 v6, 0x3f8, v6
	v_and_b32_e32 v7, 0x3f8, v7
	v_add_nc_u32_e32 v4, v4, v84
	ds_store_b64 v1, v[9:10] offset:8192
	ds_store_b64 v2, v[11:12] offset:10240
	ds_store_b64 v3, v[13:14] offset:12288
	ds_store_b64 v4, v[15:16] offset:14336
	v_lshrrev_b32_e32 v4, 2, v73
	v_add_nc_u32_e32 v1, v5, v84
	v_lshrrev_b32_e32 v5, 2, v72
	v_add_nc_u32_e32 v2, v6, v84
	v_add_nc_u32_e32 v3, v7, v84
	v_lshrrev_b32_e32 v6, 2, v71
	v_lshrrev_b32_e32 v7, 2, v70
	;; [unrolled: 1-line block ×3, first 2 shown]
	v_and_b32_e32 v4, 0x3f8, v4
	v_and_b32_e32 v5, 0x3f8, v5
	;; [unrolled: 1-line block ×5, first 2 shown]
	v_add_nc_u32_e32 v4, v4, v84
	v_add_nc_u32_e32 v5, v5, v84
	;; [unrolled: 1-line block ×5, first 2 shown]
	ds_store_b64 v1, v[17:18] offset:16384
	ds_store_b64 v2, v[19:20] offset:18432
	;; [unrolled: 1-line block ×8, first 2 shown]
	s_waitcnt lgkmcnt(0)
	s_barrier
.LBB3_21:
	v_lshlrev_b32_e32 v1, 4, v0
	v_lshrrev_b32_e32 v85, 1, v0
	buffer_gl0_inv
	s_load_b64 s[16:17], s[0:1], 0x28
	v_mbcnt_lo_u32_b32 v86, -1, 0
	s_cmp_lg_u32 s15, 0
	v_add_lshl_u32 v3, v85, v1, 3
	ds_load_2addr_b64 v[33:36], v3 offset1:1
	ds_load_2addr_b64 v[37:40], v3 offset0:2 offset1:3
	ds_load_2addr_b64 v[61:64], v3 offset0:4 offset1:5
	;; [unrolled: 1-line block ×7, first 2 shown]
	s_waitcnt lgkmcnt(0)
	s_barrier
	buffer_gl0_inv
	v_add_f64 v[1:2], v[33:34], v[35:36]
	s_delay_alu instid0(VALU_DEP_1)
	v_add_f64 v[65:66], v[37:38], v[1:2]
	s_cbranch_scc0 .LBB3_83
; %bb.22:
	s_delay_alu instid0(VALU_DEP_1) | instskip(SKIP_2) | instid1(VALU_DEP_2)
	v_add_f64 v[1:2], v[39:40], v[65:66]
	v_and_b32_e32 v5, 15, v86
	s_mov_b32 s2, exec_lo
	v_add_f64 v[1:2], v[61:62], v[1:2]
	s_delay_alu instid0(VALU_DEP_1) | instskip(NEXT) | instid1(VALU_DEP_1)
	v_add_f64 v[1:2], v[63:64], v[1:2]
	v_add_f64 v[1:2], v[57:58], v[1:2]
	s_delay_alu instid0(VALU_DEP_1) | instskip(NEXT) | instid1(VALU_DEP_1)
	v_add_f64 v[1:2], v[59:60], v[1:2]
	;; [unrolled: 3-line block ×6, first 2 shown]
	v_mov_b32_dpp v3, v1 row_shr:1 row_mask:0xf bank_mask:0xf
	s_delay_alu instid0(VALU_DEP_2)
	v_mov_b32_dpp v4, v2 row_shr:1 row_mask:0xf bank_mask:0xf
	v_cmpx_ne_u32_e32 0, v5
; %bb.23:
	s_delay_alu instid0(VALU_DEP_2)
	v_add_f64 v[1:2], v[1:2], v[3:4]
; %bb.24:
	s_or_b32 exec_lo, exec_lo, s2
	s_delay_alu instid0(VALU_DEP_1) | instskip(NEXT) | instid1(VALU_DEP_2)
	v_mov_b32_dpp v3, v1 row_shr:2 row_mask:0xf bank_mask:0xf
	v_mov_b32_dpp v4, v2 row_shr:2 row_mask:0xf bank_mask:0xf
	s_mov_b32 s2, exec_lo
	v_cmpx_lt_u32_e32 1, v5
; %bb.25:
	s_delay_alu instid0(VALU_DEP_2)
	v_add_f64 v[1:2], v[1:2], v[3:4]
; %bb.26:
	s_or_b32 exec_lo, exec_lo, s2
	s_delay_alu instid0(VALU_DEP_1) | instskip(NEXT) | instid1(VALU_DEP_2)
	v_mov_b32_dpp v3, v1 row_shr:4 row_mask:0xf bank_mask:0xf
	v_mov_b32_dpp v4, v2 row_shr:4 row_mask:0xf bank_mask:0xf
	s_mov_b32 s2, exec_lo
	v_cmpx_lt_u32_e32 3, v5
	;; [unrolled: 10-line block ×3, first 2 shown]
; %bb.29:
	s_delay_alu instid0(VALU_DEP_2)
	v_add_f64 v[1:2], v[1:2], v[3:4]
; %bb.30:
	s_or_b32 exec_lo, exec_lo, s2
	ds_swizzle_b32 v3, v1 offset:swizzle(BROADCAST,32,15)
	ds_swizzle_b32 v4, v2 offset:swizzle(BROADCAST,32,15)
	v_and_b32_e32 v5, 16, v86
	s_mov_b32 s2, exec_lo
	s_delay_alu instid0(VALU_DEP_1)
	v_cmpx_ne_u32_e32 0, v5
	s_cbranch_execz .LBB3_32
; %bb.31:
	s_waitcnt lgkmcnt(0)
	v_add_f64 v[1:2], v[1:2], v[3:4]
.LBB3_32:
	s_or_b32 exec_lo, exec_lo, s2
	s_waitcnt lgkmcnt(1)
	v_or_b32_e32 v3, 31, v0
	v_lshrrev_b32_e32 v9, 5, v0
	s_mov_b32 s2, exec_lo
	s_delay_alu instid0(VALU_DEP_2)
	v_cmpx_eq_u32_e64 v3, v0
	s_cbranch_execz .LBB3_34
; %bb.33:
	s_delay_alu instid0(VALU_DEP_2)
	v_lshlrev_b32_e32 v3, 3, v9
	ds_store_b64 v3, v[1:2]
.LBB3_34:
	s_or_b32 exec_lo, exec_lo, s2
	s_delay_alu instid0(SALU_CYCLE_1)
	s_mov_b32 s2, exec_lo
	s_waitcnt lgkmcnt(0)
	s_barrier
	buffer_gl0_inv
	v_cmpx_gt_u32_e32 8, v0
	s_cbranch_execz .LBB3_42
; %bb.35:
	ds_load_b64 v[3:4], v84
	v_and_b32_e32 v7, 7, v86
	s_mov_b32 s3, exec_lo
	s_waitcnt lgkmcnt(0)
	v_mov_b32_dpp v5, v3 row_shr:1 row_mask:0xf bank_mask:0xf
	v_mov_b32_dpp v6, v4 row_shr:1 row_mask:0xf bank_mask:0xf
	v_cmpx_ne_u32_e32 0, v7
; %bb.36:
	s_delay_alu instid0(VALU_DEP_2)
	v_add_f64 v[3:4], v[3:4], v[5:6]
; %bb.37:
	s_or_b32 exec_lo, exec_lo, s3
	s_delay_alu instid0(VALU_DEP_1) | instskip(NEXT) | instid1(VALU_DEP_2)
	v_mov_b32_dpp v5, v3 row_shr:2 row_mask:0xf bank_mask:0xf
	v_mov_b32_dpp v6, v4 row_shr:2 row_mask:0xf bank_mask:0xf
	s_mov_b32 s3, exec_lo
	v_cmpx_lt_u32_e32 1, v7
; %bb.38:
	s_delay_alu instid0(VALU_DEP_2)
	v_add_f64 v[3:4], v[3:4], v[5:6]
; %bb.39:
	s_or_b32 exec_lo, exec_lo, s3
	s_delay_alu instid0(VALU_DEP_1) | instskip(NEXT) | instid1(VALU_DEP_2)
	v_mov_b32_dpp v5, v3 row_shr:4 row_mask:0xf bank_mask:0xf
	v_mov_b32_dpp v6, v4 row_shr:4 row_mask:0xf bank_mask:0xf
	s_mov_b32 s3, exec_lo
	v_cmpx_lt_u32_e32 3, v7
; %bb.40:
	s_delay_alu instid0(VALU_DEP_2)
	v_add_f64 v[3:4], v[3:4], v[5:6]
; %bb.41:
	s_or_b32 exec_lo, exec_lo, s3
	ds_store_b64 v84, v[3:4]
.LBB3_42:
	s_or_b32 exec_lo, exec_lo, s2
	v_cmp_gt_u32_e32 vcc_lo, 32, v0
	s_mov_b32 s3, exec_lo
	s_waitcnt lgkmcnt(0)
	s_barrier
	buffer_gl0_inv
                                        ; implicit-def: $vgpr7_vgpr8
	v_cmpx_lt_u32_e32 31, v0
	s_cbranch_execz .LBB3_44
; %bb.43:
	v_lshl_add_u32 v3, v9, 3, -8
	ds_load_b64 v[7:8], v3
	s_waitcnt lgkmcnt(0)
	v_add_f64 v[1:2], v[1:2], v[7:8]
.LBB3_44:
	s_or_b32 exec_lo, exec_lo, s3
	v_add_nc_u32_e32 v3, -1, v86
	s_delay_alu instid0(VALU_DEP_1) | instskip(NEXT) | instid1(VALU_DEP_1)
	v_cmp_gt_i32_e64 s2, 0, v3
	v_cndmask_b32_e64 v3, v3, v86, s2
	v_cmp_eq_u32_e64 s2, 0, v86
	s_delay_alu instid0(VALU_DEP_2)
	v_lshlrev_b32_e32 v3, 2, v3
	ds_bpermute_b32 v15, v3, v1
	ds_bpermute_b32 v16, v3, v2
	s_and_saveexec_b32 s3, vcc_lo
	s_cbranch_execz .LBB3_82
; %bb.45:
	v_mov_b32_e32 v4, 0
	ds_load_b64 v[1:2], v4 offset:56
	s_and_saveexec_b32 s12, s2
	s_cbranch_execz .LBB3_47
; %bb.46:
	s_add_i32 s22, s15, 32
	s_mov_b32 s23, 0
	s_delay_alu instid0(SALU_CYCLE_1) | instskip(NEXT) | instid1(SALU_CYCLE_1)
	s_lshl_b64 s[22:23], s[22:23], 4
	s_add_u32 s22, s16, s22
	s_addc_u32 s23, s17, s23
	v_mov_b32_e32 v5, s22
	v_dual_mov_b32 v3, 1 :: v_dual_mov_b32 v6, s23
	s_waitcnt lgkmcnt(0)
	;;#ASMSTART
	global_store_dwordx4 v[5:6], v[1:4] off	
s_waitcnt vmcnt(0)
	;;#ASMEND
.LBB3_47:
	s_or_b32 exec_lo, exec_lo, s12
	v_xad_u32 v9, v86, -1, s15
	s_mov_b32 s13, 0
	s_mov_b32 s12, exec_lo
	s_delay_alu instid0(VALU_DEP_1) | instskip(NEXT) | instid1(VALU_DEP_1)
	v_add_nc_u32_e32 v3, 32, v9
	v_lshlrev_b64 v[3:4], 4, v[3:4]
	s_delay_alu instid0(VALU_DEP_1) | instskip(NEXT) | instid1(VALU_DEP_2)
	v_add_co_u32 v10, vcc_lo, s16, v3
	v_add_co_ci_u32_e32 v11, vcc_lo, s17, v4, vcc_lo
	;;#ASMSTART
	global_load_dwordx4 v[3:6], v[10:11] off glc	
s_waitcnt vmcnt(0)
	;;#ASMEND
	v_and_b32_e32 v6, 0xff, v5
	s_delay_alu instid0(VALU_DEP_1)
	v_cmpx_eq_u16_e32 0, v6
	s_cbranch_execz .LBB3_50
.LBB3_48:                               ; =>This Inner Loop Header: Depth=1
	;;#ASMSTART
	global_load_dwordx4 v[3:6], v[10:11] off glc	
s_waitcnt vmcnt(0)
	;;#ASMEND
	v_and_b32_e32 v6, 0xff, v5
	s_delay_alu instid0(VALU_DEP_1) | instskip(SKIP_1) | instid1(SALU_CYCLE_1)
	v_cmp_ne_u16_e32 vcc_lo, 0, v6
	s_or_b32 s13, vcc_lo, s13
	s_and_not1_b32 exec_lo, exec_lo, s13
	s_cbranch_execnz .LBB3_48
; %bb.49:
	s_or_b32 exec_lo, exec_lo, s13
.LBB3_50:
	s_delay_alu instid0(SALU_CYCLE_1)
	s_or_b32 exec_lo, exec_lo, s12
	v_cmp_ne_u32_e32 vcc_lo, 31, v86
	v_and_b32_e32 v10, 0xff, v5
	v_lshlrev_b32_e64 v18, v86, -1
	v_add_nc_u32_e32 v19, 1, v86
	s_mov_b32 s12, exec_lo
	v_add_co_ci_u32_e32 v6, vcc_lo, 0, v86, vcc_lo
	v_cmp_eq_u16_e32 vcc_lo, 2, v10
	s_delay_alu instid0(VALU_DEP_2) | instskip(SKIP_4) | instid1(VALU_DEP_1)
	v_lshlrev_b32_e32 v17, 2, v6
	v_and_or_b32 v6, vcc_lo, v18, 0x80000000
	ds_bpermute_b32 v10, v17, v3
	ds_bpermute_b32 v11, v17, v4
	v_ctz_i32_b32_e32 v6, v6
	v_cmpx_le_u32_e64 v19, v6
	s_cbranch_execz .LBB3_52
; %bb.51:
	s_waitcnt lgkmcnt(0)
	v_add_f64 v[3:4], v[3:4], v[10:11]
.LBB3_52:
	s_or_b32 exec_lo, exec_lo, s12
	v_cmp_gt_u32_e32 vcc_lo, 30, v86
	v_add_nc_u32_e32 v21, 2, v86
	s_mov_b32 s12, exec_lo
	s_waitcnt lgkmcnt(1)
	v_cndmask_b32_e64 v10, 0, 1, vcc_lo
	s_delay_alu instid0(VALU_DEP_1) | instskip(NEXT) | instid1(VALU_DEP_1)
	v_lshlrev_b32_e32 v10, 1, v10
	v_add_lshl_u32 v20, v10, v86, 2
	ds_bpermute_b32 v10, v20, v3
	s_waitcnt lgkmcnt(1)
	ds_bpermute_b32 v11, v20, v4
	v_cmpx_le_u32_e64 v21, v6
	s_cbranch_execz .LBB3_54
; %bb.53:
	s_waitcnt lgkmcnt(0)
	v_add_f64 v[3:4], v[3:4], v[10:11]
.LBB3_54:
	s_or_b32 exec_lo, exec_lo, s12
	v_cmp_gt_u32_e32 vcc_lo, 28, v86
	v_add_nc_u32_e32 v23, 4, v86
	s_mov_b32 s12, exec_lo
	s_waitcnt lgkmcnt(1)
	v_cndmask_b32_e64 v10, 0, 1, vcc_lo
	s_delay_alu instid0(VALU_DEP_1) | instskip(NEXT) | instid1(VALU_DEP_1)
	v_lshlrev_b32_e32 v10, 2, v10
	v_add_lshl_u32 v22, v10, v86, 2
	ds_bpermute_b32 v10, v22, v3
	s_waitcnt lgkmcnt(1)
	ds_bpermute_b32 v11, v22, v4
	v_cmpx_le_u32_e64 v23, v6
	s_cbranch_execz .LBB3_56
; %bb.55:
	s_waitcnt lgkmcnt(0)
	v_add_f64 v[3:4], v[3:4], v[10:11]
.LBB3_56:
	s_or_b32 exec_lo, exec_lo, s12
	v_cmp_gt_u32_e32 vcc_lo, 24, v86
	v_add_nc_u32_e32 v25, 8, v86
	s_mov_b32 s12, exec_lo
	s_waitcnt lgkmcnt(1)
	v_cndmask_b32_e64 v10, 0, 1, vcc_lo
	s_delay_alu instid0(VALU_DEP_1) | instskip(NEXT) | instid1(VALU_DEP_1)
	v_lshlrev_b32_e32 v10, 3, v10
	v_add_lshl_u32 v24, v10, v86, 2
	ds_bpermute_b32 v10, v24, v3
	s_waitcnt lgkmcnt(1)
	ds_bpermute_b32 v11, v24, v4
	v_cmpx_le_u32_e64 v25, v6
	s_cbranch_execz .LBB3_58
; %bb.57:
	s_waitcnt lgkmcnt(0)
	v_add_f64 v[3:4], v[3:4], v[10:11]
.LBB3_58:
	s_or_b32 exec_lo, exec_lo, s12
	v_cmp_gt_u32_e32 vcc_lo, 16, v86
	v_add_nc_u32_e32 v27, 16, v86
	s_mov_b32 s12, exec_lo
	s_waitcnt lgkmcnt(1)
	v_cndmask_b32_e64 v10, 0, 1, vcc_lo
	s_delay_alu instid0(VALU_DEP_1) | instskip(NEXT) | instid1(VALU_DEP_1)
	v_lshlrev_b32_e32 v10, 4, v10
	v_add_lshl_u32 v26, v10, v86, 2
	ds_bpermute_b32 v10, v26, v3
	s_waitcnt lgkmcnt(1)
	ds_bpermute_b32 v11, v26, v4
	v_cmpx_le_u32_e64 v27, v6
	s_cbranch_execz .LBB3_60
; %bb.59:
	s_waitcnt lgkmcnt(0)
	v_add_f64 v[3:4], v[3:4], v[10:11]
.LBB3_60:
	s_or_b32 exec_lo, exec_lo, s12
	s_waitcnt lgkmcnt(1)
	v_mov_b32_e32 v10, 0
	s_branch .LBB3_62
.LBB3_61:                               ;   in Loop: Header=BB3_62 Depth=1
	s_or_b32 exec_lo, exec_lo, s12
	s_delay_alu instid0(VALU_DEP_1)
	v_add_f64 v[3:4], v[11:12], v[3:4]
	v_subrev_nc_u32_e32 v9, 32, v9
.LBB3_62:                               ; =>This Loop Header: Depth=1
                                        ;     Child Loop BB3_65 Depth 2
	s_waitcnt lgkmcnt(0)
	s_delay_alu instid0(VALU_DEP_2) | instskip(NEXT) | instid1(VALU_DEP_3)
	v_dual_mov_b32 v12, v4 :: v_dual_and_b32 v5, 0xff, v5
	v_mov_b32_e32 v11, v3
	s_delay_alu instid0(VALU_DEP_2) | instskip(SKIP_2) | instid1(VALU_DEP_1)
	v_cmp_ne_u16_e32 vcc_lo, 2, v5
	v_cndmask_b32_e64 v5, 0, 1, vcc_lo
	;;#ASMSTART
	;;#ASMEND
	v_cmp_ne_u32_e32 vcc_lo, 0, v5
	s_cmp_lg_u32 vcc_lo, exec_lo
	s_cbranch_scc1 .LBB3_77
; %bb.63:                               ;   in Loop: Header=BB3_62 Depth=1
	v_lshlrev_b64 v[3:4], 4, v[9:10]
	s_mov_b32 s12, exec_lo
	s_delay_alu instid0(VALU_DEP_1) | instskip(NEXT) | instid1(VALU_DEP_2)
	v_add_co_u32 v13, vcc_lo, s16, v3
	v_add_co_ci_u32_e32 v14, vcc_lo, s17, v4, vcc_lo
	;;#ASMSTART
	global_load_dwordx4 v[3:6], v[13:14] off glc	
s_waitcnt vmcnt(0)
	;;#ASMEND
	v_and_b32_e32 v6, 0xff, v5
	s_delay_alu instid0(VALU_DEP_1)
	v_cmpx_eq_u16_e32 0, v6
	s_cbranch_execz .LBB3_67
; %bb.64:                               ;   in Loop: Header=BB3_62 Depth=1
	s_mov_b32 s13, 0
.LBB3_65:                               ;   Parent Loop BB3_62 Depth=1
                                        ; =>  This Inner Loop Header: Depth=2
	;;#ASMSTART
	global_load_dwordx4 v[3:6], v[13:14] off glc	
s_waitcnt vmcnt(0)
	;;#ASMEND
	v_and_b32_e32 v6, 0xff, v5
	s_delay_alu instid0(VALU_DEP_1) | instskip(SKIP_1) | instid1(SALU_CYCLE_1)
	v_cmp_ne_u16_e32 vcc_lo, 0, v6
	s_or_b32 s13, vcc_lo, s13
	s_and_not1_b32 exec_lo, exec_lo, s13
	s_cbranch_execnz .LBB3_65
; %bb.66:                               ;   in Loop: Header=BB3_62 Depth=1
	s_or_b32 exec_lo, exec_lo, s13
.LBB3_67:                               ;   in Loop: Header=BB3_62 Depth=1
	s_delay_alu instid0(SALU_CYCLE_1)
	s_or_b32 exec_lo, exec_lo, s12
	v_and_b32_e32 v6, 0xff, v5
	ds_bpermute_b32 v13, v17, v3
	ds_bpermute_b32 v14, v17, v4
	s_mov_b32 s12, exec_lo
	v_cmp_eq_u16_e32 vcc_lo, 2, v6
	v_and_or_b32 v6, vcc_lo, v18, 0x80000000
	s_delay_alu instid0(VALU_DEP_1) | instskip(NEXT) | instid1(VALU_DEP_1)
	v_ctz_i32_b32_e32 v6, v6
	v_cmpx_le_u32_e64 v19, v6
	s_cbranch_execz .LBB3_69
; %bb.68:                               ;   in Loop: Header=BB3_62 Depth=1
	s_waitcnt lgkmcnt(0)
	v_add_f64 v[3:4], v[3:4], v[13:14]
.LBB3_69:                               ;   in Loop: Header=BB3_62 Depth=1
	s_or_b32 exec_lo, exec_lo, s12
	s_waitcnt lgkmcnt(1)
	ds_bpermute_b32 v13, v20, v3
	s_waitcnt lgkmcnt(1)
	ds_bpermute_b32 v14, v20, v4
	s_mov_b32 s12, exec_lo
	v_cmpx_le_u32_e64 v21, v6
	s_cbranch_execz .LBB3_71
; %bb.70:                               ;   in Loop: Header=BB3_62 Depth=1
	s_waitcnt lgkmcnt(0)
	v_add_f64 v[3:4], v[3:4], v[13:14]
.LBB3_71:                               ;   in Loop: Header=BB3_62 Depth=1
	s_or_b32 exec_lo, exec_lo, s12
	s_waitcnt lgkmcnt(1)
	ds_bpermute_b32 v13, v22, v3
	s_waitcnt lgkmcnt(1)
	ds_bpermute_b32 v14, v22, v4
	s_mov_b32 s12, exec_lo
	;; [unrolled: 12-line block ×4, first 2 shown]
	v_cmpx_le_u32_e64 v27, v6
	s_cbranch_execz .LBB3_61
; %bb.76:                               ;   in Loop: Header=BB3_62 Depth=1
	s_waitcnt lgkmcnt(0)
	v_add_f64 v[3:4], v[3:4], v[13:14]
	s_branch .LBB3_61
.LBB3_77:                               ;   in Loop: Header=BB3_62 Depth=1
                                        ; implicit-def: $vgpr3_vgpr4
	s_cbranch_execz .LBB3_62
; %bb.78:
	s_and_saveexec_b32 s12, s2
	s_cbranch_execz .LBB3_80
; %bb.79:
	s_add_i32 s14, s15, 32
	s_mov_b32 s15, 0
	v_add_f64 v[1:2], v[1:2], v[11:12]
	s_lshl_b64 s[14:15], s[14:15], 4
	v_dual_mov_b32 v3, 2 :: v_dual_mov_b32 v4, 0
	s_add_u32 s14, s16, s14
	s_addc_u32 s15, s17, s15
	s_delay_alu instid0(SALU_CYCLE_1)
	v_dual_mov_b32 v5, s14 :: v_dual_mov_b32 v6, s15
	;;#ASMSTART
	global_store_dwordx4 v[5:6], v[1:4] off	
s_waitcnt vmcnt(0)
	;;#ASMEND
.LBB3_80:
	s_or_b32 exec_lo, exec_lo, s12
	v_cmp_eq_u32_e32 vcc_lo, 0, v0
	s_and_b32 exec_lo, exec_lo, vcc_lo
	s_cbranch_execz .LBB3_82
; %bb.81:
	v_mov_b32_e32 v1, 0
	ds_store_b64 v1, v[11:12] offset:56
.LBB3_82:
	s_or_b32 exec_lo, exec_lo, s3
	v_cmp_eq_u32_e32 vcc_lo, 0, v0
	v_mov_b32_e32 v1, 0
	s_waitcnt lgkmcnt(0)
	s_barrier
	buffer_gl0_inv
	v_cndmask_b32_e64 v4, v16, v8, s2
	ds_load_b64 v[1:2], v1 offset:56
	v_cndmask_b32_e64 v3, v15, v7, s2
	s_waitcnt lgkmcnt(0)
	s_delay_alu instid0(VALU_DEP_1) | instskip(NEXT) | instid1(VALU_DEP_1)
	v_add_f64 v[3:4], v[3:4], v[1:2]
	v_dual_cndmask_b32 v2, v4, v2 :: v_dual_cndmask_b32 v1, v3, v1
	s_delay_alu instid0(VALU_DEP_1) | instskip(NEXT) | instid1(VALU_DEP_1)
	v_add_f64 v[3:4], v[33:34], v[1:2]
	v_add_f64 v[5:6], v[35:36], v[3:4]
	s_delay_alu instid0(VALU_DEP_1) | instskip(NEXT) | instid1(VALU_DEP_1)
	v_add_f64 v[7:8], v[37:38], v[5:6]
	v_add_f64 v[9:10], v[39:40], v[7:8]
	;; [unrolled: 3-line block ×7, first 2 shown]
	s_delay_alu instid0(VALU_DEP_1)
	v_add_f64 v[31:32], v[41:42], v[29:30]
	s_load_b128 s[12:15], s[0:1], 0x38
	s_branch .LBB3_111
.LBB3_83:
                                        ; implicit-def: $vgpr1_vgpr2_vgpr3_vgpr4_vgpr5_vgpr6_vgpr7_vgpr8_vgpr9_vgpr10_vgpr11_vgpr12_vgpr13_vgpr14_vgpr15_vgpr16_vgpr17_vgpr18_vgpr19_vgpr20_vgpr21_vgpr22_vgpr23_vgpr24_vgpr25_vgpr26_vgpr27_vgpr28_vgpr29_vgpr30_vgpr31_vgpr32
	s_load_b128 s[12:15], s[0:1], 0x38
	s_cbranch_execz .LBB3_111
; %bb.84:
	s_load_b32 s2, s[0:1], 0x48
	v_dual_mov_b32 v68, s11 :: v_dual_mov_b32 v67, s10
	s_waitcnt lgkmcnt(0)
	s_bitcmp0_b32 s2, 0
	s_cbranch_scc1 .LBB3_86
; %bb.85:
	s_add_u32 s2, s4, -8
	s_addc_u32 s3, s5, -1
	s_load_b64 s[2:3], s[2:3], 0x0
	s_load_b64 s[4:5], s[12:13], 0x0
	s_waitcnt lgkmcnt(0)
	v_add_f64 v[67:68], s[2:3], s[4:5]
.LBB3_86:
	s_delay_alu instid0(VALU_DEP_2) | instskip(SKIP_2) | instid1(VALU_DEP_2)
	v_add_f64 v[1:2], v[39:40], v[65:66]
	v_and_b32_e32 v5, 15, v86
	s_mov_b32 s2, exec_lo
	v_add_f64 v[1:2], v[61:62], v[1:2]
	s_delay_alu instid0(VALU_DEP_1) | instskip(NEXT) | instid1(VALU_DEP_1)
	v_add_f64 v[1:2], v[63:64], v[1:2]
	v_add_f64 v[1:2], v[57:58], v[1:2]
	s_delay_alu instid0(VALU_DEP_1) | instskip(NEXT) | instid1(VALU_DEP_1)
	v_add_f64 v[1:2], v[59:60], v[1:2]
	;; [unrolled: 3-line block ×6, first 2 shown]
	v_mov_b32_dpp v3, v1 row_shr:1 row_mask:0xf bank_mask:0xf
	s_delay_alu instid0(VALU_DEP_2)
	v_mov_b32_dpp v4, v2 row_shr:1 row_mask:0xf bank_mask:0xf
	v_cmpx_ne_u32_e32 0, v5
; %bb.87:
	s_delay_alu instid0(VALU_DEP_2)
	v_add_f64 v[1:2], v[1:2], v[3:4]
; %bb.88:
	s_or_b32 exec_lo, exec_lo, s2
	s_delay_alu instid0(VALU_DEP_1) | instskip(NEXT) | instid1(VALU_DEP_2)
	v_mov_b32_dpp v3, v1 row_shr:2 row_mask:0xf bank_mask:0xf
	v_mov_b32_dpp v4, v2 row_shr:2 row_mask:0xf bank_mask:0xf
	s_mov_b32 s2, exec_lo
	v_cmpx_lt_u32_e32 1, v5
; %bb.89:
	s_delay_alu instid0(VALU_DEP_2)
	v_add_f64 v[1:2], v[1:2], v[3:4]
; %bb.90:
	s_or_b32 exec_lo, exec_lo, s2
	s_delay_alu instid0(VALU_DEP_1) | instskip(NEXT) | instid1(VALU_DEP_2)
	v_mov_b32_dpp v3, v1 row_shr:4 row_mask:0xf bank_mask:0xf
	v_mov_b32_dpp v4, v2 row_shr:4 row_mask:0xf bank_mask:0xf
	s_mov_b32 s2, exec_lo
	v_cmpx_lt_u32_e32 3, v5
	;; [unrolled: 10-line block ×3, first 2 shown]
; %bb.93:
	s_delay_alu instid0(VALU_DEP_2)
	v_add_f64 v[1:2], v[1:2], v[3:4]
; %bb.94:
	s_or_b32 exec_lo, exec_lo, s2
	ds_swizzle_b32 v3, v1 offset:swizzle(BROADCAST,32,15)
	ds_swizzle_b32 v4, v2 offset:swizzle(BROADCAST,32,15)
	v_and_b32_e32 v5, 16, v86
	s_mov_b32 s2, exec_lo
	s_delay_alu instid0(VALU_DEP_1)
	v_cmpx_ne_u32_e32 0, v5
	s_cbranch_execz .LBB3_96
; %bb.95:
	s_waitcnt lgkmcnt(0)
	v_add_f64 v[1:2], v[1:2], v[3:4]
.LBB3_96:
	s_or_b32 exec_lo, exec_lo, s2
	s_waitcnt lgkmcnt(1)
	v_or_b32_e32 v3, 31, v0
	v_lshrrev_b32_e32 v7, 5, v0
	s_mov_b32 s2, exec_lo
	s_delay_alu instid0(VALU_DEP_2)
	v_cmpx_eq_u32_e64 v3, v0
	s_cbranch_execz .LBB3_98
; %bb.97:
	s_delay_alu instid0(VALU_DEP_2)
	v_lshlrev_b32_e32 v3, 3, v7
	ds_store_b64 v3, v[1:2]
.LBB3_98:
	s_or_b32 exec_lo, exec_lo, s2
	s_delay_alu instid0(SALU_CYCLE_1)
	s_mov_b32 s2, exec_lo
	s_waitcnt lgkmcnt(0)
	s_barrier
	buffer_gl0_inv
	v_cmpx_gt_u32_e32 8, v0
	s_cbranch_execz .LBB3_106
; %bb.99:
	ds_load_b64 v[3:4], v84
	v_and_b32_e32 v8, 7, v86
	s_mov_b32 s3, exec_lo
	s_waitcnt lgkmcnt(0)
	v_mov_b32_dpp v5, v3 row_shr:1 row_mask:0xf bank_mask:0xf
	v_mov_b32_dpp v6, v4 row_shr:1 row_mask:0xf bank_mask:0xf
	v_cmpx_ne_u32_e32 0, v8
; %bb.100:
	s_delay_alu instid0(VALU_DEP_2)
	v_add_f64 v[3:4], v[3:4], v[5:6]
; %bb.101:
	s_or_b32 exec_lo, exec_lo, s3
	s_delay_alu instid0(VALU_DEP_1) | instskip(NEXT) | instid1(VALU_DEP_2)
	v_mov_b32_dpp v5, v3 row_shr:2 row_mask:0xf bank_mask:0xf
	v_mov_b32_dpp v6, v4 row_shr:2 row_mask:0xf bank_mask:0xf
	s_mov_b32 s3, exec_lo
	v_cmpx_lt_u32_e32 1, v8
; %bb.102:
	s_delay_alu instid0(VALU_DEP_2)
	v_add_f64 v[3:4], v[3:4], v[5:6]
; %bb.103:
	s_or_b32 exec_lo, exec_lo, s3
	s_delay_alu instid0(VALU_DEP_1) | instskip(NEXT) | instid1(VALU_DEP_2)
	v_mov_b32_dpp v5, v3 row_shr:4 row_mask:0xf bank_mask:0xf
	v_mov_b32_dpp v6, v4 row_shr:4 row_mask:0xf bank_mask:0xf
	s_mov_b32 s3, exec_lo
	v_cmpx_lt_u32_e32 3, v8
; %bb.104:
	s_delay_alu instid0(VALU_DEP_2)
	v_add_f64 v[3:4], v[3:4], v[5:6]
; %bb.105:
	s_or_b32 exec_lo, exec_lo, s3
	ds_store_b64 v84, v[3:4]
.LBB3_106:
	s_or_b32 exec_lo, exec_lo, s2
	v_dual_mov_b32 v3, v67 :: v_dual_mov_b32 v4, v68
	s_mov_b32 s2, exec_lo
	s_waitcnt lgkmcnt(0)
	s_barrier
	buffer_gl0_inv
	v_cmpx_lt_u32_e32 31, v0
	s_cbranch_execz .LBB3_108
; %bb.107:
	v_lshl_add_u32 v3, v7, 3, -8
	ds_load_b64 v[3:4], v3
	s_waitcnt lgkmcnt(0)
	v_add_f64 v[3:4], v[67:68], v[3:4]
.LBB3_108:
	s_or_b32 exec_lo, exec_lo, s2
	s_delay_alu instid0(VALU_DEP_1) | instskip(SKIP_1) | instid1(VALU_DEP_1)
	v_add_f64 v[1:2], v[1:2], v[3:4]
	v_add_nc_u32_e32 v5, -1, v86
	v_cmp_gt_i32_e32 vcc_lo, 0, v5
	v_cndmask_b32_e32 v5, v5, v86, vcc_lo
	v_cmp_eq_u32_e32 vcc_lo, 0, v86
	s_delay_alu instid0(VALU_DEP_2)
	v_lshlrev_b32_e32 v5, 2, v5
	ds_bpermute_b32 v1, v5, v1
	ds_bpermute_b32 v2, v5, v2
	s_waitcnt lgkmcnt(0)
	v_dual_cndmask_b32 v1, v1, v3 :: v_dual_cndmask_b32 v2, v2, v4
	v_cmp_eq_u32_e32 vcc_lo, 0, v0
	s_delay_alu instid0(VALU_DEP_2) | instskip(NEXT) | instid1(VALU_DEP_1)
	v_dual_cndmask_b32 v2, v2, v68 :: v_dual_cndmask_b32 v1, v1, v67
	v_add_f64 v[3:4], v[33:34], v[1:2]
	s_delay_alu instid0(VALU_DEP_1) | instskip(NEXT) | instid1(VALU_DEP_1)
	v_add_f64 v[5:6], v[35:36], v[3:4]
	v_add_f64 v[7:8], v[37:38], v[5:6]
	s_delay_alu instid0(VALU_DEP_1) | instskip(NEXT) | instid1(VALU_DEP_1)
	v_add_f64 v[9:10], v[39:40], v[7:8]
	;; [unrolled: 3-line block ×7, first 2 shown]
	v_add_f64 v[31:32], v[41:42], v[29:30]
	s_and_saveexec_b32 s2, vcc_lo
	s_cbranch_execz .LBB3_110
; %bb.109:
	v_dual_mov_b32 v36, 0 :: v_dual_mov_b32 v35, 2
	s_add_u32 s4, s16, 0x200
	s_addc_u32 s5, s17, 0
	s_delay_alu instid0(SALU_CYCLE_1)
	v_dual_mov_b32 v38, s5 :: v_dual_mov_b32 v37, s4
	ds_load_b64 v[33:34], v36 offset:56
	s_waitcnt lgkmcnt(0)
	v_add_f64 v[33:34], v[67:68], v[33:34]
	;;#ASMSTART
	global_store_dwordx4 v[37:38], v[33:36] off	
s_waitcnt vmcnt(0)
	;;#ASMEND
.LBB3_110:
	s_or_b32 exec_lo, exec_lo, s2
.LBB3_111:
	v_lshlrev_b32_e32 v34, 7, v0
	v_lshrrev_b32_e32 v33, 5, v0
	s_add_u32 s2, s6, s8
	s_addc_u32 s3, s7, s9
	s_and_b32 vcc_lo, exec_lo, s20
	s_mov_b32 s4, -1
	s_waitcnt lgkmcnt(0)
	s_barrier
	buffer_gl0_inv
	s_cbranch_vccz .LBB3_113
; %bb.112:
	v_lshl_add_u32 v35, v85, 3, v34
	v_lshrrev_b32_e32 v36, 5, v82
	v_lshrrev_b32_e32 v37, 5, v81
	v_add_lshl_u32 v38, v33, v0, 3
	v_lshrrev_b32_e32 v43, 5, v80
	ds_store_2addr_b64 v35, v[1:2], v[3:4] offset1:1
	ds_store_2addr_b64 v35, v[5:6], v[7:8] offset0:2 offset1:3
	ds_store_2addr_b64 v35, v[9:10], v[11:12] offset0:4 offset1:5
	;; [unrolled: 1-line block ×7, first 2 shown]
	v_lshrrev_b32_e32 v35, 5, v83
	v_add_lshl_u32 v40, v36, v0, 3
	v_add_lshl_u32 v41, v37, v0, 3
	s_waitcnt lgkmcnt(0)
	s_barrier
	v_add_lshl_u32 v39, v35, v0, 3
	buffer_gl0_inv
	v_lshrrev_b32_e32 v52, 5, v75
	ds_load_b64 v[35:36], v38
	ds_load_b64 v[37:38], v39 offset:2048
	ds_load_b64 v[39:40], v40 offset:4096
	;; [unrolled: 1-line block ×3, first 2 shown]
	v_lshrrev_b32_e32 v44, 5, v79
	v_lshrrev_b32_e32 v53, 5, v74
	;; [unrolled: 1-line block ×5, first 2 shown]
	v_add_lshl_u32 v43, v43, v0, 3
	v_add_lshl_u32 v54, v52, v0, 3
	v_lshrrev_b32_e32 v52, 5, v73
	v_add_lshl_u32 v47, v44, v0, 3
	v_add_lshl_u32 v55, v53, v0, 3
	v_lshrrev_b32_e32 v53, 5, v72
	v_lshrrev_b32_e32 v56, 5, v71
	;; [unrolled: 1-line block ×4, first 2 shown]
	v_add_lshl_u32 v48, v45, v0, 3
	v_add_lshl_u32 v51, v51, v0, 3
	v_add_co_u32 v94, s5, s2, v84
	v_add_lshl_u32 v49, v46, v0, 3
	v_add_co_ci_u32_e64 v95, null, s3, 0, s5
	ds_load_b64 v[43:44], v43 offset:8192
	ds_load_b64 v[45:46], v47 offset:10240
	;; [unrolled: 1-line block ×4, first 2 shown]
	v_add_lshl_u32 v59, v52, v0, 3
	v_add_lshl_u32 v60, v53, v0, 3
	;; [unrolled: 1-line block ×5, first 2 shown]
	ds_load_b64 v[51:52], v51 offset:16384
	ds_load_b64 v[53:54], v54 offset:18432
	;; [unrolled: 1-line block ×8, first 2 shown]
	s_waitcnt lgkmcnt(14)
	global_store_b64 v84, v[37:38], s[2:3] offset:2048
	v_add_co_u32 v37, vcc_lo, 0x1000, v94
	v_add_co_ci_u32_e32 v38, vcc_lo, 0, v95, vcc_lo
	v_add_co_u32 v67, vcc_lo, v94, 0x2000
	v_add_co_ci_u32_e32 v68, vcc_lo, 0, v95, vcc_lo
	;; [unrolled: 2-line block ×6, first 2 shown]
	s_waitcnt lgkmcnt(13)
	global_store_b64 v[67:68], v[39:40], off offset:-4096
	s_waitcnt lgkmcnt(11)
	global_store_b64 v[67:68], v[43:44], off
	s_waitcnt lgkmcnt(9)
	global_store_b64 v[90:91], v[47:48], off offset:-4096
	s_waitcnt lgkmcnt(7)
	s_clause 0x3
	global_store_b64 v[90:91], v[51:52], off
	global_store_b64 v[37:38], v[41:42], off offset:2048
	global_store_b64 v[86:87], v[45:46], off offset:2048
	global_store_b64 v[88:89], v[49:50], off offset:2048
	s_waitcnt lgkmcnt(6)
	global_store_b64 v[92:93], v[53:54], off offset:2048
	v_add_co_u32 v37, vcc_lo, v94, 0x6000
	v_add_co_ci_u32_e32 v38, vcc_lo, 0, v95, vcc_lo
	v_add_co_u32 v39, vcc_lo, 0x5000, v94
	v_add_co_ci_u32_e32 v40, vcc_lo, 0, v95, vcc_lo
	v_add_co_u32 v41, vcc_lo, 0x6000, v94
	v_add_co_ci_u32_e32 v42, vcc_lo, 0, v95, vcc_lo
	v_add_co_u32 v43, vcc_lo, 0x7000, v94
	v_add_co_ci_u32_e32 v44, vcc_lo, 0, v95, vcc_lo
	s_mov_b32 s4, 0
	s_waitcnt lgkmcnt(5)
	s_clause 0x1
	global_store_b64 v[37:38], v[55:56], off offset:-4096
	global_store_b64 v84, v[35:36], s[2:3]
	s_waitcnt lgkmcnt(3)
	s_clause 0x1
	global_store_b64 v[37:38], v[59:60], off
	global_store_b64 v[39:40], v[57:58], off offset:2048
	s_waitcnt lgkmcnt(2)
	global_store_b64 v[41:42], v[61:62], off offset:2048
	s_waitcnt lgkmcnt(1)
	global_store_b64 v[43:44], v[63:64], off
	s_waitcnt lgkmcnt(0)
	global_store_b64 v[43:44], v[65:66], off offset:2048
.LBB3_113:
	s_and_not1_b32 vcc_lo, exec_lo, s4
	s_cbranch_vccnz .LBB3_186
; %bb.114:
	v_lshl_add_u32 v34, v85, 3, v34
	ds_store_2addr_b64 v34, v[1:2], v[3:4] offset1:1
	ds_store_2addr_b64 v34, v[5:6], v[7:8] offset0:2 offset1:3
	ds_store_2addr_b64 v34, v[9:10], v[11:12] offset0:4 offset1:5
	;; [unrolled: 1-line block ×7, first 2 shown]
	v_lshrrev_b32_e32 v1, 5, v83
	v_lshrrev_b32_e32 v2, 5, v82
	;; [unrolled: 1-line block ×3, first 2 shown]
	v_add_lshl_u32 v4, v33, v0, 3
	v_lshrrev_b32_e32 v10, 5, v80
	v_add_lshl_u32 v1, v1, v0, 3
	v_lshrrev_b32_e32 v11, 5, v79
	;; [unrolled: 2-line block ×4, first 2 shown]
	s_waitcnt lgkmcnt(0)
	s_waitcnt_vscnt null, 0x0
	s_barrier
	buffer_gl0_inv
	ds_load_b64 v[4:5], v4
	ds_load_b64 v[2:3], v1 offset:2048
	ds_load_b64 v[6:7], v6 offset:4096
	;; [unrolled: 1-line block ×3, first 2 shown]
	v_add_lshl_u32 v1, v10, v0, 3
	v_lshrrev_b32_e32 v18, 5, v76
	v_add_lshl_u32 v14, v11, v0, 3
	v_lshrrev_b32_e32 v19, 5, v75
	v_lshrrev_b32_e32 v20, 5, v74
	v_add_lshl_u32 v15, v12, v0, 3
	v_add_lshl_u32 v16, v13, v0, 3
	ds_load_b64 v[10:11], v1 offset:8192
	ds_load_b64 v[12:13], v14 offset:10240
	;; [unrolled: 1-line block ×4, first 2 shown]
	v_add_lshl_u32 v1, v18, v0, 3
	v_lshrrev_b32_e32 v18, 5, v73
	v_add_lshl_u32 v21, v19, v0, 3
	v_add_lshl_u32 v22, v20, v0, 3
	v_lshrrev_b32_e32 v19, 5, v72
	v_lshrrev_b32_e32 v20, 5, v71
	;; [unrolled: 1-line block ×4, first 2 shown]
	v_add_lshl_u32 v25, v18, v0, 3
	v_add_lshl_u32 v26, v19, v0, 3
	;; [unrolled: 1-line block ×5, first 2 shown]
	ds_load_b64 v[18:19], v1 offset:16384
	ds_load_b64 v[20:21], v21 offset:18432
	;; [unrolled: 1-line block ×8, first 2 shown]
	v_add_co_u32 v34, s2, s2, v84
	v_mov_b32_e32 v1, 0
	v_add_co_ci_u32_e64 v35, null, s3, 0, s2
	s_mov_b32 s2, exec_lo
	v_cmpx_gt_u32_e64 s18, v0
	s_cbranch_execnz .LBB3_202
; %bb.115:
	s_or_b32 exec_lo, exec_lo, s2
	s_delay_alu instid0(SALU_CYCLE_1)
	s_mov_b32 s2, exec_lo
	v_cmpx_gt_u32_e64 s18, v83
	s_cbranch_execnz .LBB3_203
.LBB3_116:
	s_or_b32 exec_lo, exec_lo, s2
	s_delay_alu instid0(SALU_CYCLE_1)
	s_mov_b32 s2, exec_lo
	v_cmpx_gt_u32_e64 s18, v82
	s_cbranch_execnz .LBB3_204
.LBB3_117:
	s_or_b32 exec_lo, exec_lo, s2
	s_delay_alu instid0(SALU_CYCLE_1)
	s_mov_b32 s2, exec_lo
	v_cmpx_gt_u32_e64 s18, v81
	s_cbranch_execnz .LBB3_205
.LBB3_118:
	s_or_b32 exec_lo, exec_lo, s2
	s_delay_alu instid0(SALU_CYCLE_1)
	s_mov_b32 s2, exec_lo
	v_cmpx_gt_u32_e64 s18, v80
	s_cbranch_execnz .LBB3_206
.LBB3_119:
	s_or_b32 exec_lo, exec_lo, s2
	s_delay_alu instid0(SALU_CYCLE_1)
	s_mov_b32 s2, exec_lo
	v_cmpx_gt_u32_e64 s18, v79
	s_cbranch_execnz .LBB3_207
.LBB3_120:
	s_or_b32 exec_lo, exec_lo, s2
	s_delay_alu instid0(SALU_CYCLE_1)
	s_mov_b32 s2, exec_lo
	v_cmpx_gt_u32_e64 s18, v78
	s_cbranch_execnz .LBB3_208
.LBB3_121:
	s_or_b32 exec_lo, exec_lo, s2
	s_delay_alu instid0(SALU_CYCLE_1)
	s_mov_b32 s2, exec_lo
	v_cmpx_gt_u32_e64 s18, v77
	s_cbranch_execnz .LBB3_209
.LBB3_122:
	s_or_b32 exec_lo, exec_lo, s2
	s_delay_alu instid0(SALU_CYCLE_1)
	s_mov_b32 s2, exec_lo
	v_cmpx_gt_u32_e64 s18, v76
	s_cbranch_execnz .LBB3_210
.LBB3_123:
	s_or_b32 exec_lo, exec_lo, s2
	s_delay_alu instid0(SALU_CYCLE_1)
	s_mov_b32 s2, exec_lo
	v_cmpx_gt_u32_e64 s18, v75
	s_cbranch_execnz .LBB3_211
.LBB3_124:
	s_or_b32 exec_lo, exec_lo, s2
	s_delay_alu instid0(SALU_CYCLE_1)
	s_mov_b32 s2, exec_lo
	v_cmpx_gt_u32_e64 s18, v74
	s_cbranch_execnz .LBB3_212
.LBB3_125:
	s_or_b32 exec_lo, exec_lo, s2
	s_delay_alu instid0(SALU_CYCLE_1)
	s_mov_b32 s2, exec_lo
	v_cmpx_gt_u32_e64 s18, v73
	s_cbranch_execnz .LBB3_213
.LBB3_126:
	s_or_b32 exec_lo, exec_lo, s2
	s_delay_alu instid0(SALU_CYCLE_1)
	s_mov_b32 s2, exec_lo
	v_cmpx_gt_u32_e64 s18, v72
	s_cbranch_execnz .LBB3_214
.LBB3_127:
	s_or_b32 exec_lo, exec_lo, s2
	s_delay_alu instid0(SALU_CYCLE_1)
	s_mov_b32 s2, exec_lo
	v_cmpx_gt_u32_e64 s18, v71
	s_cbranch_execnz .LBB3_215
.LBB3_128:
	s_or_b32 exec_lo, exec_lo, s2
	s_delay_alu instid0(SALU_CYCLE_1)
	s_mov_b32 s2, exec_lo
	v_cmpx_gt_u32_e64 s18, v70
	s_cbranch_execnz .LBB3_216
.LBB3_129:
	s_or_b32 exec_lo, exec_lo, s2
	s_delay_alu instid0(SALU_CYCLE_1)
	s_mov_b32 s2, exec_lo
	v_cmpx_gt_u32_e64 s18, v69
	s_cbranch_execz .LBB3_131
.LBB3_130:
	v_add_co_u32 v34, vcc_lo, 0x7000, v34
	v_add_co_ci_u32_e32 v35, vcc_lo, 0, v35, vcc_lo
	s_waitcnt lgkmcnt(0)
	global_store_b64 v[34:35], v[32:33], off offset:2048
.LBB3_131:
	s_or_b32 exec_lo, exec_lo, s2
	s_load_b32 s0, s[0:1], 0x48
	s_waitcnt lgkmcnt(0)
	s_bfe_u32 s0, s0, 0x10008
	s_delay_alu instid0(SALU_CYCLE_1)
	s_cmp_eq_u32 s0, 0
	s_cbranch_scc1 .LBB3_186
; %bb.132:
	s_add_u32 s0, s18, -1
	s_addc_u32 s1, s19, -1
	s_delay_alu instid0(SALU_CYCLE_1)
	s_lshr_b64 s[2:3], s[0:1], 4
	s_mov_b32 s1, exec_lo
	v_cmpx_eq_u64_e64 s[2:3], v[0:1]
	s_cbranch_execz .LBB3_186
; %bb.133:
	s_and_b32 s0, s0, 15
	s_mov_b32 s1, 0
	s_delay_alu instid0(SALU_CYCLE_1) | instskip(NEXT) | instid1(VALU_DEP_1)
	v_cmp_lt_i64_e64 s2, s[0:1], 8
	s_and_b32 vcc_lo, exec_lo, s2
	s_mov_b32 s2, -1
	s_cbranch_vccnz .LBB3_160
; %bb.134:
	v_cmp_lt_i64_e64 s2, s[0:1], 12
	s_delay_alu instid0(VALU_DEP_1)
	s_and_b32 vcc_lo, exec_lo, s2
	s_mov_b32 s2, -1
	s_cbranch_vccnz .LBB3_147
; %bb.135:
	v_cmp_lt_i64_e64 s2, s[0:1], 14
	s_delay_alu instid0(VALU_DEP_1)
	s_and_b32 vcc_lo, exec_lo, s2
	s_mov_b32 s2, -1
	s_cbranch_vccnz .LBB3_141
; %bb.136:
	v_cmp_gt_i64_e64 s2, s[0:1], 14
	s_delay_alu instid0(VALU_DEP_1)
	s_and_b32 vcc_lo, exec_lo, s2
	s_mov_b32 s2, -1
	s_cbranch_vccz .LBB3_138
; %bb.137:
	v_mov_b32_e32 v0, 0
	s_mov_b32 s2, 0
	global_store_b64 v0, v[32:33], s[14:15]
.LBB3_138:
	s_and_not1_b32 vcc_lo, exec_lo, s2
	s_cbranch_vccnz .LBB3_140
; %bb.139:
	v_mov_b32_e32 v0, 0
	global_store_b64 v0, v[30:31], s[14:15]
.LBB3_140:
	s_mov_b32 s2, 0
.LBB3_141:
	s_delay_alu instid0(SALU_CYCLE_1)
	s_and_not1_b32 vcc_lo, exec_lo, s2
	s_cbranch_vccnz .LBB3_146
; %bb.142:
	v_cmp_gt_i64_e64 s2, s[0:1], 12
	s_delay_alu instid0(VALU_DEP_1)
	s_and_b32 vcc_lo, exec_lo, s2
	s_mov_b32 s2, -1
	s_cbranch_vccz .LBB3_144
; %bb.143:
	v_mov_b32_e32 v0, 0
	s_mov_b32 s2, 0
	global_store_b64 v0, v[28:29], s[14:15]
.LBB3_144:
	s_and_not1_b32 vcc_lo, exec_lo, s2
	s_cbranch_vccnz .LBB3_146
; %bb.145:
	v_mov_b32_e32 v0, 0
	global_store_b64 v0, v[26:27], s[14:15]
.LBB3_146:
	s_mov_b32 s2, 0
.LBB3_147:
	s_delay_alu instid0(SALU_CYCLE_1)
	s_and_not1_b32 vcc_lo, exec_lo, s2
	s_cbranch_vccnz .LBB3_159
; %bb.148:
	v_cmp_lt_i64_e64 s2, s[0:1], 10
	s_delay_alu instid0(VALU_DEP_1)
	s_and_b32 vcc_lo, exec_lo, s2
	s_mov_b32 s2, -1
	s_cbranch_vccnz .LBB3_154
; %bb.149:
	v_cmp_gt_i64_e64 s2, s[0:1], 10
	s_delay_alu instid0(VALU_DEP_1)
	s_and_b32 vcc_lo, exec_lo, s2
	s_mov_b32 s2, -1
	s_cbranch_vccz .LBB3_151
; %bb.150:
	v_mov_b32_e32 v0, 0
	s_mov_b32 s2, 0
	global_store_b64 v0, v[24:25], s[14:15]
.LBB3_151:
	s_and_not1_b32 vcc_lo, exec_lo, s2
	s_cbranch_vccnz .LBB3_153
; %bb.152:
	v_mov_b32_e32 v0, 0
	global_store_b64 v0, v[22:23], s[14:15]
.LBB3_153:
	s_mov_b32 s2, 0
.LBB3_154:
	s_delay_alu instid0(SALU_CYCLE_1)
	s_and_not1_b32 vcc_lo, exec_lo, s2
	s_cbranch_vccnz .LBB3_159
; %bb.155:
	v_cmp_gt_i64_e64 s2, s[0:1], 8
	s_delay_alu instid0(VALU_DEP_1)
	s_and_b32 vcc_lo, exec_lo, s2
	s_mov_b32 s2, -1
	s_cbranch_vccz .LBB3_157
; %bb.156:
	v_mov_b32_e32 v0, 0
	s_mov_b32 s2, 0
	global_store_b64 v0, v[20:21], s[14:15]
.LBB3_157:
	s_and_not1_b32 vcc_lo, exec_lo, s2
	s_cbranch_vccnz .LBB3_159
; %bb.158:
	v_mov_b32_e32 v0, 0
	global_store_b64 v0, v[18:19], s[14:15]
.LBB3_159:
	s_mov_b32 s2, 0
.LBB3_160:
	s_delay_alu instid0(SALU_CYCLE_1)
	s_and_not1_b32 vcc_lo, exec_lo, s2
	s_cbranch_vccnz .LBB3_186
; %bb.161:
	v_cmp_lt_i64_e64 s2, s[0:1], 4
	s_delay_alu instid0(VALU_DEP_1)
	s_and_b32 vcc_lo, exec_lo, s2
	s_mov_b32 s2, -1
	s_cbranch_vccnz .LBB3_174
; %bb.162:
	v_cmp_lt_i64_e64 s2, s[0:1], 6
	s_delay_alu instid0(VALU_DEP_1)
	s_and_b32 vcc_lo, exec_lo, s2
	s_mov_b32 s2, -1
	s_cbranch_vccnz .LBB3_168
; %bb.163:
	v_cmp_gt_i64_e64 s2, s[0:1], 6
	s_delay_alu instid0(VALU_DEP_1)
	s_and_b32 vcc_lo, exec_lo, s2
	s_mov_b32 s2, -1
	s_cbranch_vccz .LBB3_165
; %bb.164:
	v_mov_b32_e32 v0, 0
	s_mov_b32 s2, 0
	global_store_b64 v0, v[16:17], s[14:15]
.LBB3_165:
	s_and_not1_b32 vcc_lo, exec_lo, s2
	s_cbranch_vccnz .LBB3_167
; %bb.166:
	v_mov_b32_e32 v0, 0
	global_store_b64 v0, v[14:15], s[14:15]
.LBB3_167:
	s_mov_b32 s2, 0
.LBB3_168:
	s_delay_alu instid0(SALU_CYCLE_1)
	s_and_not1_b32 vcc_lo, exec_lo, s2
	s_cbranch_vccnz .LBB3_173
; %bb.169:
	v_cmp_gt_i64_e64 s2, s[0:1], 4
	s_delay_alu instid0(VALU_DEP_1)
	s_and_b32 vcc_lo, exec_lo, s2
	s_mov_b32 s2, -1
	s_cbranch_vccz .LBB3_171
; %bb.170:
	v_mov_b32_e32 v0, 0
	s_mov_b32 s2, 0
	global_store_b64 v0, v[12:13], s[14:15]
.LBB3_171:
	s_and_not1_b32 vcc_lo, exec_lo, s2
	s_cbranch_vccnz .LBB3_173
; %bb.172:
	v_mov_b32_e32 v0, 0
	global_store_b64 v0, v[10:11], s[14:15]
.LBB3_173:
	s_mov_b32 s2, 0
.LBB3_174:
	s_delay_alu instid0(SALU_CYCLE_1)
	s_and_not1_b32 vcc_lo, exec_lo, s2
	s_cbranch_vccnz .LBB3_186
; %bb.175:
	v_cmp_lt_i64_e64 s2, s[0:1], 2
	s_delay_alu instid0(VALU_DEP_1)
	s_and_b32 vcc_lo, exec_lo, s2
	s_mov_b32 s2, -1
	s_cbranch_vccnz .LBB3_181
; %bb.176:
	v_cmp_gt_i64_e64 s2, s[0:1], 2
	s_delay_alu instid0(VALU_DEP_1)
	s_and_b32 vcc_lo, exec_lo, s2
	s_mov_b32 s2, -1
	s_cbranch_vccz .LBB3_178
; %bb.177:
	v_mov_b32_e32 v0, 0
	s_mov_b32 s2, 0
	global_store_b64 v0, v[8:9], s[14:15]
.LBB3_178:
	s_and_not1_b32 vcc_lo, exec_lo, s2
	s_cbranch_vccnz .LBB3_180
; %bb.179:
	v_mov_b32_e32 v0, 0
	global_store_b64 v0, v[6:7], s[14:15]
.LBB3_180:
	s_mov_b32 s2, 0
.LBB3_181:
	s_delay_alu instid0(SALU_CYCLE_1)
	s_and_not1_b32 vcc_lo, exec_lo, s2
	s_cbranch_vccnz .LBB3_186
; %bb.182:
	s_cmp_eq_u64 s[0:1], 1
	s_mov_b32 s0, -1
	s_cbranch_scc1 .LBB3_184
; %bb.183:
	v_mov_b32_e32 v0, 0
	s_mov_b32 s0, 0
	global_store_b64 v0, v[4:5], s[14:15]
.LBB3_184:
	s_and_not1_b32 vcc_lo, exec_lo, s0
	s_cbranch_vccnz .LBB3_186
; %bb.185:
	v_mov_b32_e32 v0, 0
	global_store_b64 v0, v[2:3], s[14:15]
.LBB3_186:
	s_nop 0
	s_sendmsg sendmsg(MSG_DEALLOC_VGPRS)
	s_endpgm
.LBB3_187:
	global_load_b64 v[33:34], v[35:36], off
	v_dual_mov_b32 v1, s36 :: v_dual_mov_b32 v2, s37
	v_dual_mov_b32 v3, s38 :: v_dual_mov_b32 v4, s39
	;; [unrolled: 1-line block ×16, first 2 shown]
	s_or_b32 exec_lo, exec_lo, s3
	s_delay_alu instid0(SALU_CYCLE_1)
	s_mov_b32 s2, exec_lo
	v_cmpx_gt_u32_e64 s18, v83
	s_cbranch_execz .LBB3_5
.LBB3_188:
	global_load_b64 v[3:4], v[35:36], off offset:2048
	s_or_b32 exec_lo, exec_lo, s2
	s_delay_alu instid0(SALU_CYCLE_1)
	s_mov_b32 s2, exec_lo
	v_cmpx_gt_u32_e64 s18, v82
	s_cbranch_execz .LBB3_6
.LBB3_189:
	v_add_co_u32 v1, vcc_lo, 0x1000, v35
	v_add_co_ci_u32_e32 v2, vcc_lo, 0, v36, vcc_lo
	global_load_b64 v[5:6], v[1:2], off
	s_or_b32 exec_lo, exec_lo, s2
	s_delay_alu instid0(SALU_CYCLE_1)
	s_mov_b32 s2, exec_lo
	v_cmpx_gt_u32_e64 s18, v81
	s_cbranch_execz .LBB3_7
.LBB3_190:
	v_add_co_u32 v1, vcc_lo, 0x1000, v35
	v_add_co_ci_u32_e32 v2, vcc_lo, 0, v36, vcc_lo
	global_load_b64 v[7:8], v[1:2], off offset:2048
	s_or_b32 exec_lo, exec_lo, s2
	s_delay_alu instid0(SALU_CYCLE_1)
	s_mov_b32 s2, exec_lo
	v_cmpx_gt_u32_e64 s18, v80
	s_cbranch_execz .LBB3_8
.LBB3_191:
	v_add_co_u32 v1, vcc_lo, 0x2000, v35
	v_add_co_ci_u32_e32 v2, vcc_lo, 0, v36, vcc_lo
	global_load_b64 v[9:10], v[1:2], off
	s_or_b32 exec_lo, exec_lo, s2
	s_delay_alu instid0(SALU_CYCLE_1)
	s_mov_b32 s2, exec_lo
	v_cmpx_gt_u32_e64 s18, v79
	s_cbranch_execz .LBB3_9
.LBB3_192:
	v_add_co_u32 v1, vcc_lo, 0x2000, v35
	v_add_co_ci_u32_e32 v2, vcc_lo, 0, v36, vcc_lo
	global_load_b64 v[11:12], v[1:2], off offset:2048
	s_or_b32 exec_lo, exec_lo, s2
	s_delay_alu instid0(SALU_CYCLE_1)
	s_mov_b32 s2, exec_lo
	v_cmpx_gt_u32_e64 s18, v78
	s_cbranch_execz .LBB3_10
.LBB3_193:
	v_add_co_u32 v1, vcc_lo, 0x3000, v35
	v_add_co_ci_u32_e32 v2, vcc_lo, 0, v36, vcc_lo
	global_load_b64 v[13:14], v[1:2], off
	s_or_b32 exec_lo, exec_lo, s2
	s_delay_alu instid0(SALU_CYCLE_1)
	s_mov_b32 s2, exec_lo
	v_cmpx_gt_u32_e64 s18, v77
	s_cbranch_execz .LBB3_11
.LBB3_194:
	v_add_co_u32 v1, vcc_lo, 0x3000, v35
	v_add_co_ci_u32_e32 v2, vcc_lo, 0, v36, vcc_lo
	global_load_b64 v[15:16], v[1:2], off offset:2048
	s_or_b32 exec_lo, exec_lo, s2
	s_delay_alu instid0(SALU_CYCLE_1)
	s_mov_b32 s2, exec_lo
	v_cmpx_gt_u32_e64 s18, v76
	s_cbranch_execz .LBB3_12
.LBB3_195:
	v_add_co_u32 v1, vcc_lo, 0x4000, v35
	v_add_co_ci_u32_e32 v2, vcc_lo, 0, v36, vcc_lo
	global_load_b64 v[17:18], v[1:2], off
	s_or_b32 exec_lo, exec_lo, s2
	s_delay_alu instid0(SALU_CYCLE_1)
	s_mov_b32 s2, exec_lo
	v_cmpx_gt_u32_e64 s18, v75
	s_cbranch_execz .LBB3_13
.LBB3_196:
	v_add_co_u32 v1, vcc_lo, 0x4000, v35
	v_add_co_ci_u32_e32 v2, vcc_lo, 0, v36, vcc_lo
	global_load_b64 v[19:20], v[1:2], off offset:2048
	s_or_b32 exec_lo, exec_lo, s2
	s_delay_alu instid0(SALU_CYCLE_1)
	s_mov_b32 s2, exec_lo
	v_cmpx_gt_u32_e64 s18, v74
	s_cbranch_execz .LBB3_14
.LBB3_197:
	v_add_co_u32 v1, vcc_lo, 0x5000, v35
	v_add_co_ci_u32_e32 v2, vcc_lo, 0, v36, vcc_lo
	global_load_b64 v[21:22], v[1:2], off
	s_or_b32 exec_lo, exec_lo, s2
	s_delay_alu instid0(SALU_CYCLE_1)
	s_mov_b32 s2, exec_lo
	v_cmpx_gt_u32_e64 s18, v73
	s_cbranch_execz .LBB3_15
.LBB3_198:
	v_add_co_u32 v1, vcc_lo, 0x5000, v35
	v_add_co_ci_u32_e32 v2, vcc_lo, 0, v36, vcc_lo
	global_load_b64 v[23:24], v[1:2], off offset:2048
	s_or_b32 exec_lo, exec_lo, s2
	s_delay_alu instid0(SALU_CYCLE_1)
	s_mov_b32 s2, exec_lo
	v_cmpx_gt_u32_e64 s18, v72
	s_cbranch_execz .LBB3_16
.LBB3_199:
	v_add_co_u32 v1, vcc_lo, 0x6000, v35
	v_add_co_ci_u32_e32 v2, vcc_lo, 0, v36, vcc_lo
	global_load_b64 v[25:26], v[1:2], off
	s_or_b32 exec_lo, exec_lo, s2
	s_delay_alu instid0(SALU_CYCLE_1)
	s_mov_b32 s2, exec_lo
	v_cmpx_gt_u32_e64 s18, v71
	s_cbranch_execz .LBB3_17
.LBB3_200:
	v_add_co_u32 v1, vcc_lo, 0x6000, v35
	v_add_co_ci_u32_e32 v2, vcc_lo, 0, v36, vcc_lo
	global_load_b64 v[27:28], v[1:2], off offset:2048
	s_or_b32 exec_lo, exec_lo, s2
	s_delay_alu instid0(SALU_CYCLE_1)
	s_mov_b32 s2, exec_lo
	v_cmpx_gt_u32_e64 s18, v70
	s_cbranch_execz .LBB3_18
.LBB3_201:
	v_add_co_u32 v1, vcc_lo, 0x7000, v35
	v_add_co_ci_u32_e32 v2, vcc_lo, 0, v36, vcc_lo
	global_load_b64 v[29:30], v[1:2], off
	s_or_b32 exec_lo, exec_lo, s2
	s_delay_alu instid0(SALU_CYCLE_1)
	s_mov_b32 s2, exec_lo
	v_cmpx_gt_u32_e64 s18, v69
	s_cbranch_execnz .LBB3_19
	s_branch .LBB3_20
.LBB3_202:
	s_waitcnt lgkmcnt(15)
	global_store_b64 v[34:35], v[4:5], off
	s_or_b32 exec_lo, exec_lo, s2
	s_delay_alu instid0(SALU_CYCLE_1)
	s_mov_b32 s2, exec_lo
	v_cmpx_gt_u32_e64 s18, v83
	s_cbranch_execz .LBB3_116
.LBB3_203:
	s_waitcnt lgkmcnt(14)
	global_store_b64 v[34:35], v[2:3], off offset:2048
	s_or_b32 exec_lo, exec_lo, s2
	s_delay_alu instid0(SALU_CYCLE_1)
	s_mov_b32 s2, exec_lo
	v_cmpx_gt_u32_e64 s18, v82
	s_cbranch_execz .LBB3_117
.LBB3_204:
	v_add_co_u32 v36, vcc_lo, 0x1000, v34
	v_add_co_ci_u32_e32 v37, vcc_lo, 0, v35, vcc_lo
	s_waitcnt lgkmcnt(13)
	global_store_b64 v[36:37], v[6:7], off
	s_or_b32 exec_lo, exec_lo, s2
	s_delay_alu instid0(SALU_CYCLE_1)
	s_mov_b32 s2, exec_lo
	v_cmpx_gt_u32_e64 s18, v81
	s_cbranch_execz .LBB3_118
.LBB3_205:
	v_add_co_u32 v36, vcc_lo, 0x1000, v34
	v_add_co_ci_u32_e32 v37, vcc_lo, 0, v35, vcc_lo
	s_waitcnt lgkmcnt(12)
	global_store_b64 v[36:37], v[8:9], off offset:2048
	s_or_b32 exec_lo, exec_lo, s2
	s_delay_alu instid0(SALU_CYCLE_1)
	s_mov_b32 s2, exec_lo
	v_cmpx_gt_u32_e64 s18, v80
	s_cbranch_execz .LBB3_119
.LBB3_206:
	v_add_co_u32 v36, vcc_lo, 0x2000, v34
	v_add_co_ci_u32_e32 v37, vcc_lo, 0, v35, vcc_lo
	s_waitcnt lgkmcnt(11)
	global_store_b64 v[36:37], v[10:11], off
	s_or_b32 exec_lo, exec_lo, s2
	s_delay_alu instid0(SALU_CYCLE_1)
	s_mov_b32 s2, exec_lo
	v_cmpx_gt_u32_e64 s18, v79
	s_cbranch_execz .LBB3_120
.LBB3_207:
	v_add_co_u32 v36, vcc_lo, 0x2000, v34
	v_add_co_ci_u32_e32 v37, vcc_lo, 0, v35, vcc_lo
	s_waitcnt lgkmcnt(10)
	global_store_b64 v[36:37], v[12:13], off offset:2048
	s_or_b32 exec_lo, exec_lo, s2
	s_delay_alu instid0(SALU_CYCLE_1)
	s_mov_b32 s2, exec_lo
	v_cmpx_gt_u32_e64 s18, v78
	s_cbranch_execz .LBB3_121
.LBB3_208:
	v_add_co_u32 v36, vcc_lo, 0x3000, v34
	v_add_co_ci_u32_e32 v37, vcc_lo, 0, v35, vcc_lo
	s_waitcnt lgkmcnt(9)
	global_store_b64 v[36:37], v[14:15], off
	s_or_b32 exec_lo, exec_lo, s2
	s_delay_alu instid0(SALU_CYCLE_1)
	s_mov_b32 s2, exec_lo
	v_cmpx_gt_u32_e64 s18, v77
	s_cbranch_execz .LBB3_122
.LBB3_209:
	v_add_co_u32 v36, vcc_lo, 0x3000, v34
	v_add_co_ci_u32_e32 v37, vcc_lo, 0, v35, vcc_lo
	s_waitcnt lgkmcnt(8)
	global_store_b64 v[36:37], v[16:17], off offset:2048
	s_or_b32 exec_lo, exec_lo, s2
	s_delay_alu instid0(SALU_CYCLE_1)
	s_mov_b32 s2, exec_lo
	v_cmpx_gt_u32_e64 s18, v76
	s_cbranch_execz .LBB3_123
.LBB3_210:
	v_add_co_u32 v36, vcc_lo, 0x4000, v34
	v_add_co_ci_u32_e32 v37, vcc_lo, 0, v35, vcc_lo
	s_waitcnt lgkmcnt(7)
	global_store_b64 v[36:37], v[18:19], off
	s_or_b32 exec_lo, exec_lo, s2
	s_delay_alu instid0(SALU_CYCLE_1)
	s_mov_b32 s2, exec_lo
	v_cmpx_gt_u32_e64 s18, v75
	s_cbranch_execz .LBB3_124
.LBB3_211:
	v_add_co_u32 v36, vcc_lo, 0x4000, v34
	v_add_co_ci_u32_e32 v37, vcc_lo, 0, v35, vcc_lo
	s_waitcnt lgkmcnt(6)
	global_store_b64 v[36:37], v[20:21], off offset:2048
	s_or_b32 exec_lo, exec_lo, s2
	s_delay_alu instid0(SALU_CYCLE_1)
	s_mov_b32 s2, exec_lo
	v_cmpx_gt_u32_e64 s18, v74
	s_cbranch_execz .LBB3_125
.LBB3_212:
	v_add_co_u32 v36, vcc_lo, 0x5000, v34
	v_add_co_ci_u32_e32 v37, vcc_lo, 0, v35, vcc_lo
	s_waitcnt lgkmcnt(5)
	global_store_b64 v[36:37], v[22:23], off
	s_or_b32 exec_lo, exec_lo, s2
	s_delay_alu instid0(SALU_CYCLE_1)
	s_mov_b32 s2, exec_lo
	v_cmpx_gt_u32_e64 s18, v73
	s_cbranch_execz .LBB3_126
.LBB3_213:
	v_add_co_u32 v36, vcc_lo, 0x5000, v34
	v_add_co_ci_u32_e32 v37, vcc_lo, 0, v35, vcc_lo
	s_waitcnt lgkmcnt(4)
	global_store_b64 v[36:37], v[24:25], off offset:2048
	s_or_b32 exec_lo, exec_lo, s2
	s_delay_alu instid0(SALU_CYCLE_1)
	s_mov_b32 s2, exec_lo
	v_cmpx_gt_u32_e64 s18, v72
	s_cbranch_execz .LBB3_127
.LBB3_214:
	v_add_co_u32 v36, vcc_lo, 0x6000, v34
	v_add_co_ci_u32_e32 v37, vcc_lo, 0, v35, vcc_lo
	s_waitcnt lgkmcnt(3)
	global_store_b64 v[36:37], v[26:27], off
	s_or_b32 exec_lo, exec_lo, s2
	s_delay_alu instid0(SALU_CYCLE_1)
	s_mov_b32 s2, exec_lo
	v_cmpx_gt_u32_e64 s18, v71
	s_cbranch_execz .LBB3_128
.LBB3_215:
	v_add_co_u32 v36, vcc_lo, 0x6000, v34
	v_add_co_ci_u32_e32 v37, vcc_lo, 0, v35, vcc_lo
	s_waitcnt lgkmcnt(2)
	global_store_b64 v[36:37], v[28:29], off offset:2048
	s_or_b32 exec_lo, exec_lo, s2
	s_delay_alu instid0(SALU_CYCLE_1)
	s_mov_b32 s2, exec_lo
	v_cmpx_gt_u32_e64 s18, v70
	s_cbranch_execz .LBB3_129
.LBB3_216:
	v_add_co_u32 v36, vcc_lo, 0x7000, v34
	v_add_co_ci_u32_e32 v37, vcc_lo, 0, v35, vcc_lo
	s_waitcnt lgkmcnt(1)
	global_store_b64 v[36:37], v[30:31], off
	s_or_b32 exec_lo, exec_lo, s2
	s_delay_alu instid0(SALU_CYCLE_1)
	s_mov_b32 s2, exec_lo
	v_cmpx_gt_u32_e64 s18, v69
	s_cbranch_execnz .LBB3_130
	s_branch .LBB3_131
	.section	.rodata,"a",@progbits
	.p2align	6, 0x0
	.amdhsa_kernel _ZN7rocprim6detail20lookback_scan_kernelILNS0_25lookback_scan_determinismE0ELb1ENS0_19wrapped_scan_configINS_14default_configEdEEPdS6_N4RAJA9operators4plusIdddEEddNS0_19lookback_scan_stateIdLb0ELb1EEEEEvT2_T3_mT5_T4_T7_jPT6_SJ_bb
		.amdhsa_group_segment_fixed_size 33792
		.amdhsa_private_segment_fixed_size 0
		.amdhsa_kernarg_size 76
		.amdhsa_user_sgpr_count 15
		.amdhsa_user_sgpr_dispatch_ptr 0
		.amdhsa_user_sgpr_queue_ptr 0
		.amdhsa_user_sgpr_kernarg_segment_ptr 1
		.amdhsa_user_sgpr_dispatch_id 0
		.amdhsa_user_sgpr_private_segment_size 0
		.amdhsa_wavefront_size32 1
		.amdhsa_uses_dynamic_stack 0
		.amdhsa_enable_private_segment 0
		.amdhsa_system_sgpr_workgroup_id_x 1
		.amdhsa_system_sgpr_workgroup_id_y 0
		.amdhsa_system_sgpr_workgroup_id_z 0
		.amdhsa_system_sgpr_workgroup_info 0
		.amdhsa_system_vgpr_workitem_id 0
		.amdhsa_next_free_vgpr 96
		.amdhsa_next_free_sgpr 68
		.amdhsa_reserve_vcc 1
		.amdhsa_float_round_mode_32 0
		.amdhsa_float_round_mode_16_64 0
		.amdhsa_float_denorm_mode_32 3
		.amdhsa_float_denorm_mode_16_64 3
		.amdhsa_dx10_clamp 1
		.amdhsa_ieee_mode 1
		.amdhsa_fp16_overflow 0
		.amdhsa_workgroup_processor_mode 1
		.amdhsa_memory_ordered 1
		.amdhsa_forward_progress 0
		.amdhsa_shared_vgpr_count 0
		.amdhsa_exception_fp_ieee_invalid_op 0
		.amdhsa_exception_fp_denorm_src 0
		.amdhsa_exception_fp_ieee_div_zero 0
		.amdhsa_exception_fp_ieee_overflow 0
		.amdhsa_exception_fp_ieee_underflow 0
		.amdhsa_exception_fp_ieee_inexact 0
		.amdhsa_exception_int_div_zero 0
	.end_amdhsa_kernel
	.section	.text._ZN7rocprim6detail20lookback_scan_kernelILNS0_25lookback_scan_determinismE0ELb1ENS0_19wrapped_scan_configINS_14default_configEdEEPdS6_N4RAJA9operators4plusIdddEEddNS0_19lookback_scan_stateIdLb0ELb1EEEEEvT2_T3_mT5_T4_T7_jPT6_SJ_bb,"axG",@progbits,_ZN7rocprim6detail20lookback_scan_kernelILNS0_25lookback_scan_determinismE0ELb1ENS0_19wrapped_scan_configINS_14default_configEdEEPdS6_N4RAJA9operators4plusIdddEEddNS0_19lookback_scan_stateIdLb0ELb1EEEEEvT2_T3_mT5_T4_T7_jPT6_SJ_bb,comdat
.Lfunc_end3:
	.size	_ZN7rocprim6detail20lookback_scan_kernelILNS0_25lookback_scan_determinismE0ELb1ENS0_19wrapped_scan_configINS_14default_configEdEEPdS6_N4RAJA9operators4plusIdddEEddNS0_19lookback_scan_stateIdLb0ELb1EEEEEvT2_T3_mT5_T4_T7_jPT6_SJ_bb, .Lfunc_end3-_ZN7rocprim6detail20lookback_scan_kernelILNS0_25lookback_scan_determinismE0ELb1ENS0_19wrapped_scan_configINS_14default_configEdEEPdS6_N4RAJA9operators4plusIdddEEddNS0_19lookback_scan_stateIdLb0ELb1EEEEEvT2_T3_mT5_T4_T7_jPT6_SJ_bb
                                        ; -- End function
	.section	.AMDGPU.csdata,"",@progbits
; Kernel info:
; codeLenInByte = 9752
; NumSgprs: 70
; NumVgprs: 96
; ScratchSize: 0
; MemoryBound: 1
; FloatMode: 240
; IeeeMode: 1
; LDSByteSize: 33792 bytes/workgroup (compile time only)
; SGPRBlocks: 8
; VGPRBlocks: 11
; NumSGPRsForWavesPerEU: 70
; NumVGPRsForWavesPerEU: 96
; Occupancy: 6
; WaveLimiterHint : 1
; COMPUTE_PGM_RSRC2:SCRATCH_EN: 0
; COMPUTE_PGM_RSRC2:USER_SGPR: 15
; COMPUTE_PGM_RSRC2:TRAP_HANDLER: 0
; COMPUTE_PGM_RSRC2:TGID_X_EN: 1
; COMPUTE_PGM_RSRC2:TGID_Y_EN: 0
; COMPUTE_PGM_RSRC2:TGID_Z_EN: 0
; COMPUTE_PGM_RSRC2:TIDIG_COMP_CNT: 0
	.section	.text._ZN7rocprim6detail16transform_kernelINS0_24wrapped_transform_configINS_14default_configEdEEdPdS5_NS_8identityIdEEEEvT1_mT2_T3_,"axG",@progbits,_ZN7rocprim6detail16transform_kernelINS0_24wrapped_transform_configINS_14default_configEdEEdPdS5_NS_8identityIdEEEEvT1_mT2_T3_,comdat
	.protected	_ZN7rocprim6detail16transform_kernelINS0_24wrapped_transform_configINS_14default_configEdEEdPdS5_NS_8identityIdEEEEvT1_mT2_T3_ ; -- Begin function _ZN7rocprim6detail16transform_kernelINS0_24wrapped_transform_configINS_14default_configEdEEdPdS5_NS_8identityIdEEEEvT1_mT2_T3_
	.globl	_ZN7rocprim6detail16transform_kernelINS0_24wrapped_transform_configINS_14default_configEdEEdPdS5_NS_8identityIdEEEEvT1_mT2_T3_
	.p2align	8
	.type	_ZN7rocprim6detail16transform_kernelINS0_24wrapped_transform_configINS_14default_configEdEEdPdS5_NS_8identityIdEEEEvT1_mT2_T3_,@function
_ZN7rocprim6detail16transform_kernelINS0_24wrapped_transform_configINS_14default_configEdEEdPdS5_NS_8identityIdEEEEvT1_mT2_T3_: ; @_ZN7rocprim6detail16transform_kernelINS0_24wrapped_transform_configINS_14default_configEdEEdPdS5_NS_8identityIdEEEEvT1_mT2_T3_
; %bb.0:
	s_clause 0x2
	s_load_b32 s3, s[0:1], 0x20
	s_load_b128 s[4:7], s[0:1], 0x0
	s_load_b64 s[0:1], s[0:1], 0x10
	v_lshlrev_b32_e32 v2, 3, v0
	s_lshl_b32 s2, s15, 9
	s_waitcnt lgkmcnt(0)
	s_add_i32 s7, s3, -1
	s_mov_b32 s3, 0
	s_cmp_lg_u32 s15, s7
	s_mov_b32 s7, -1
	s_cbranch_scc0 .LBB4_2
; %bb.1:
	s_lshl_b64 s[8:9], s[2:3], 3
	s_mov_b32 s7, s3
	s_add_u32 s10, s4, s8
	s_addc_u32 s11, s5, s9
	s_add_u32 s8, s0, s8
	global_load_b64 v[3:4], v2, s[10:11]
	s_addc_u32 s9, s1, s9
	s_waitcnt vmcnt(0)
	global_store_b64 v2, v[3:4], s[8:9]
.LBB4_2:
	s_and_not1_b32 vcc_lo, exec_lo, s7
	s_cbranch_vccnz .LBB4_7
; %bb.3:
	s_sub_i32 s6, s6, s2
	s_delay_alu instid0(SALU_CYCLE_1)
	v_cmp_gt_u32_e32 vcc_lo, s6, v0
                                        ; implicit-def: $vgpr0_vgpr1
	s_and_saveexec_b32 s6, vcc_lo
	s_cbranch_execz .LBB4_5
; %bb.4:
	s_lshl_b64 s[8:9], s[2:3], 3
	s_delay_alu instid0(SALU_CYCLE_1)
	s_add_u32 s4, s4, s8
	s_addc_u32 s5, s5, s9
	global_load_b64 v[0:1], v2, s[4:5]
.LBB4_5:
	s_or_b32 exec_lo, exec_lo, s6
	s_and_saveexec_b32 s4, vcc_lo
	s_cbranch_execz .LBB4_7
; %bb.6:
	s_lshl_b64 s[2:3], s[2:3], 3
	s_delay_alu instid0(SALU_CYCLE_1)
	s_add_u32 s0, s0, s2
	s_addc_u32 s1, s1, s3
	s_waitcnt vmcnt(0)
	global_store_b64 v2, v[0:1], s[0:1]
.LBB4_7:
	s_nop 0
	s_sendmsg sendmsg(MSG_DEALLOC_VGPRS)
	s_endpgm
	.section	.rodata,"a",@progbits
	.p2align	6, 0x0
	.amdhsa_kernel _ZN7rocprim6detail16transform_kernelINS0_24wrapped_transform_configINS_14default_configEdEEdPdS5_NS_8identityIdEEEEvT1_mT2_T3_
		.amdhsa_group_segment_fixed_size 0
		.amdhsa_private_segment_fixed_size 0
		.amdhsa_kernarg_size 288
		.amdhsa_user_sgpr_count 15
		.amdhsa_user_sgpr_dispatch_ptr 0
		.amdhsa_user_sgpr_queue_ptr 0
		.amdhsa_user_sgpr_kernarg_segment_ptr 1
		.amdhsa_user_sgpr_dispatch_id 0
		.amdhsa_user_sgpr_private_segment_size 0
		.amdhsa_wavefront_size32 1
		.amdhsa_uses_dynamic_stack 0
		.amdhsa_enable_private_segment 0
		.amdhsa_system_sgpr_workgroup_id_x 1
		.amdhsa_system_sgpr_workgroup_id_y 0
		.amdhsa_system_sgpr_workgroup_id_z 0
		.amdhsa_system_sgpr_workgroup_info 0
		.amdhsa_system_vgpr_workitem_id 0
		.amdhsa_next_free_vgpr 5
		.amdhsa_next_free_sgpr 16
		.amdhsa_reserve_vcc 1
		.amdhsa_float_round_mode_32 0
		.amdhsa_float_round_mode_16_64 0
		.amdhsa_float_denorm_mode_32 3
		.amdhsa_float_denorm_mode_16_64 3
		.amdhsa_dx10_clamp 1
		.amdhsa_ieee_mode 1
		.amdhsa_fp16_overflow 0
		.amdhsa_workgroup_processor_mode 1
		.amdhsa_memory_ordered 1
		.amdhsa_forward_progress 0
		.amdhsa_shared_vgpr_count 0
		.amdhsa_exception_fp_ieee_invalid_op 0
		.amdhsa_exception_fp_denorm_src 0
		.amdhsa_exception_fp_ieee_div_zero 0
		.amdhsa_exception_fp_ieee_overflow 0
		.amdhsa_exception_fp_ieee_underflow 0
		.amdhsa_exception_fp_ieee_inexact 0
		.amdhsa_exception_int_div_zero 0
	.end_amdhsa_kernel
	.section	.text._ZN7rocprim6detail16transform_kernelINS0_24wrapped_transform_configINS_14default_configEdEEdPdS5_NS_8identityIdEEEEvT1_mT2_T3_,"axG",@progbits,_ZN7rocprim6detail16transform_kernelINS0_24wrapped_transform_configINS_14default_configEdEEdPdS5_NS_8identityIdEEEEvT1_mT2_T3_,comdat
.Lfunc_end4:
	.size	_ZN7rocprim6detail16transform_kernelINS0_24wrapped_transform_configINS_14default_configEdEEdPdS5_NS_8identityIdEEEEvT1_mT2_T3_, .Lfunc_end4-_ZN7rocprim6detail16transform_kernelINS0_24wrapped_transform_configINS_14default_configEdEEdPdS5_NS_8identityIdEEEEvT1_mT2_T3_
                                        ; -- End function
	.section	.AMDGPU.csdata,"",@progbits
; Kernel info:
; codeLenInByte = 208
; NumSgprs: 18
; NumVgprs: 5
; ScratchSize: 0
; MemoryBound: 0
; FloatMode: 240
; IeeeMode: 1
; LDSByteSize: 0 bytes/workgroup (compile time only)
; SGPRBlocks: 2
; VGPRBlocks: 0
; NumSGPRsForWavesPerEU: 18
; NumVGPRsForWavesPerEU: 5
; Occupancy: 16
; WaveLimiterHint : 0
; COMPUTE_PGM_RSRC2:SCRATCH_EN: 0
; COMPUTE_PGM_RSRC2:USER_SGPR: 15
; COMPUTE_PGM_RSRC2:TRAP_HANDLER: 0
; COMPUTE_PGM_RSRC2:TGID_X_EN: 1
; COMPUTE_PGM_RSRC2:TGID_Y_EN: 0
; COMPUTE_PGM_RSRC2:TGID_Z_EN: 0
; COMPUTE_PGM_RSRC2:TIDIG_COMP_CNT: 0
	.section	.text._ZN7rocprim6detail18single_scan_kernelILb1ENS0_19wrapped_scan_configINS_14default_configEdEEPdS5_N4RAJA9operators4plusIdddEEddEEvT1_mT4_T2_T3_,"axG",@progbits,_ZN7rocprim6detail18single_scan_kernelILb1ENS0_19wrapped_scan_configINS_14default_configEdEEPdS5_N4RAJA9operators4plusIdddEEddEEvT1_mT4_T2_T3_,comdat
	.protected	_ZN7rocprim6detail18single_scan_kernelILb1ENS0_19wrapped_scan_configINS_14default_configEdEEPdS5_N4RAJA9operators4plusIdddEEddEEvT1_mT4_T2_T3_ ; -- Begin function _ZN7rocprim6detail18single_scan_kernelILb1ENS0_19wrapped_scan_configINS_14default_configEdEEPdS5_N4RAJA9operators4plusIdddEEddEEvT1_mT4_T2_T3_
	.globl	_ZN7rocprim6detail18single_scan_kernelILb1ENS0_19wrapped_scan_configINS_14default_configEdEEPdS5_N4RAJA9operators4plusIdddEEddEEvT1_mT4_T2_T3_
	.p2align	8
	.type	_ZN7rocprim6detail18single_scan_kernelILb1ENS0_19wrapped_scan_configINS_14default_configEdEEPdS5_N4RAJA9operators4plusIdddEEddEEvT1_mT4_T2_T3_,@function
_ZN7rocprim6detail18single_scan_kernelILb1ENS0_19wrapped_scan_configINS_14default_configEdEEPdS5_N4RAJA9operators4plusIdddEEddEEvT1_mT4_T2_T3_: ; @_ZN7rocprim6detail18single_scan_kernelILb1ENS0_19wrapped_scan_configINS_14default_configEdEEPdS5_N4RAJA9operators4plusIdddEEddEEvT1_mT4_T2_T3_
; %bb.0:
	s_load_b256 s[36:43], s[0:1], 0x0
	s_waitcnt lgkmcnt(0)
	s_load_b64 s[0:1], s[36:37], 0x0
	v_cmp_gt_u32_e32 vcc_lo, s38, v0
	s_waitcnt lgkmcnt(0)
	s_mov_b32 s2, s0
	s_mov_b32 s3, s1
	;; [unrolled: 1-line block ×30, first 2 shown]
	s_delay_alu instid0(SALU_CYCLE_1) | instskip(SKIP_2) | instid1(VALU_DEP_3)
	v_dual_mov_b32 v32, s31 :: v_dual_lshlrev_b32 v37, 3, v0
	v_dual_mov_b32 v1, s0 :: v_dual_mov_b32 v34, s1
	v_dual_mov_b32 v31, s30 :: v_dual_mov_b32 v30, s29
	v_add_co_u32 v35, s33, s36, v37
	s_delay_alu instid0(VALU_DEP_1)
	v_add_co_ci_u32_e64 v36, null, s37, 0, s33
	v_dual_mov_b32 v29, s28 :: v_dual_mov_b32 v28, s27
	v_dual_mov_b32 v27, s26 :: v_dual_mov_b32 v26, s25
	v_dual_mov_b32 v25, s24 :: v_dual_mov_b32 v24, s23
	v_dual_mov_b32 v23, s22 :: v_dual_mov_b32 v22, s21
	v_dual_mov_b32 v21, s20 :: v_dual_mov_b32 v20, s19
	v_dual_mov_b32 v19, s18 :: v_dual_mov_b32 v18, s17
	v_dual_mov_b32 v17, s16 :: v_dual_mov_b32 v16, s15
	v_dual_mov_b32 v15, s14 :: v_dual_mov_b32 v14, s13
	v_dual_mov_b32 v13, s12 :: v_dual_mov_b32 v12, s11
	v_dual_mov_b32 v11, s10 :: v_dual_mov_b32 v10, s9
	v_dual_mov_b32 v9, s8 :: v_dual_mov_b32 v8, s7
	v_dual_mov_b32 v7, s6 :: v_dual_mov_b32 v6, s5
	v_dual_mov_b32 v5, s4 :: v_dual_mov_b32 v4, s3
	v_dual_mov_b32 v3, s2 :: v_dual_mov_b32 v2, s1
	v_mov_b32_e32 v33, s0
	s_and_saveexec_b32 s33, vcc_lo
	s_cbranch_execz .LBB5_2
; %bb.1:
	global_load_b64 v[33:34], v[35:36], off
	v_dual_mov_b32 v32, s31 :: v_dual_mov_b32 v31, s30
	v_dual_mov_b32 v30, s29 :: v_dual_mov_b32 v29, s28
	;; [unrolled: 1-line block ×16, first 2 shown]
.LBB5_2:
	s_or_b32 exec_lo, exec_lo, s33
	v_or_b32_e32 v1, 0x100, v0
	s_delay_alu instid0(VALU_DEP_1) | instskip(NEXT) | instid1(VALU_DEP_1)
	v_cmp_gt_u32_e64 s0, s38, v1
	s_and_saveexec_b32 s1, s0
	s_cbranch_execz .LBB5_4
; %bb.3:
	global_load_b64 v[3:4], v[35:36], off offset:2048
.LBB5_4:
	s_or_b32 exec_lo, exec_lo, s1
	v_or_b32_e32 v2, 0x200, v0
	s_delay_alu instid0(VALU_DEP_1) | instskip(NEXT) | instid1(VALU_DEP_1)
	v_cmp_gt_u32_e64 s1, s38, v2
	s_and_saveexec_b32 s3, s1
	s_cbranch_execz .LBB5_6
; %bb.5:
	v_add_co_u32 v5, s2, 0x1000, v35
	s_delay_alu instid0(VALU_DEP_1)
	v_add_co_ci_u32_e64 v6, s2, 0, v36, s2
	global_load_b64 v[5:6], v[5:6], off
.LBB5_6:
	s_or_b32 exec_lo, exec_lo, s3
	v_or_b32_e32 v38, 0x300, v0
	s_delay_alu instid0(VALU_DEP_1) | instskip(NEXT) | instid1(VALU_DEP_1)
	v_cmp_gt_u32_e64 s2, s38, v38
	s_and_saveexec_b32 s4, s2
	s_cbranch_execz .LBB5_8
; %bb.7:
	v_add_co_u32 v7, s3, 0x1000, v35
	s_delay_alu instid0(VALU_DEP_1)
	v_add_co_ci_u32_e64 v8, s3, 0, v36, s3
	global_load_b64 v[7:8], v[7:8], off offset:2048
.LBB5_8:
	s_or_b32 exec_lo, exec_lo, s4
	v_or_b32_e32 v39, 0x400, v0
	s_delay_alu instid0(VALU_DEP_1) | instskip(NEXT) | instid1(VALU_DEP_1)
	v_cmp_gt_u32_e64 s3, s38, v39
	s_and_saveexec_b32 s5, s3
	s_cbranch_execz .LBB5_10
; %bb.9:
	v_add_co_u32 v9, s4, 0x2000, v35
	s_delay_alu instid0(VALU_DEP_1)
	v_add_co_ci_u32_e64 v10, s4, 0, v36, s4
	global_load_b64 v[9:10], v[9:10], off
.LBB5_10:
	s_or_b32 exec_lo, exec_lo, s5
	v_or_b32_e32 v40, 0x500, v0
	s_delay_alu instid0(VALU_DEP_1) | instskip(NEXT) | instid1(VALU_DEP_1)
	v_cmp_gt_u32_e64 s4, s38, v40
	s_and_saveexec_b32 s6, s4
	s_cbranch_execz .LBB5_12
; %bb.11:
	v_add_co_u32 v11, s5, 0x2000, v35
	s_delay_alu instid0(VALU_DEP_1)
	v_add_co_ci_u32_e64 v12, s5, 0, v36, s5
	global_load_b64 v[11:12], v[11:12], off offset:2048
.LBB5_12:
	;; [unrolled: 24-line block ×7, first 2 shown]
	s_or_b32 exec_lo, exec_lo, s16
	v_lshrrev_b32_e32 v1, 2, v1
	v_lshrrev_b32_e32 v35, 2, v0
	;; [unrolled: 1-line block ×5, first 2 shown]
	v_and_b32_e32 v1, 0x78, v1
	v_and_b32_e32 v50, 56, v35
	v_lshrrev_b32_e32 v35, 2, v39
	v_and_b32_e32 v2, 0xf8, v2
	v_mbcnt_lo_u32_b32 v56, -1, 0
	v_add_nc_u32_e32 v39, v1, v37
	v_and_b32_e32 v1, 0xf8, v36
	v_add_nc_u32_e32 v38, v50, v37
	v_add_nc_u32_e32 v40, v2, v37
	v_and_b32_e32 v2, 0x1f8, v41
	s_waitcnt vmcnt(0)
	ds_store_b64 v38, v[33:34]
	ds_store_b64 v39, v[3:4] offset:2048
	v_add_nc_u32_e32 v41, v1, v37
	v_lshrrev_b32_e32 v1, 2, v43
	v_add_nc_u32_e32 v43, v2, v37
	v_lshrrev_b32_e32 v2, 2, v44
	v_lshrrev_b32_e32 v3, 2, v45
	;; [unrolled: 1-line block ×3, first 2 shown]
	v_and_b32_e32 v1, 0x1f8, v1
	v_and_b32_e32 v35, 0x1f8, v35
	ds_store_b64 v40, v[5:6] offset:4096
	v_and_b32_e32 v3, 0x3f8, v3
	v_and_b32_e32 v4, 0x3f8, v4
	v_add_nc_u32_e32 v44, v1, v37
	v_and_b32_e32 v1, 0x1f8, v2
	v_lshrrev_b32_e32 v2, 2, v47
	v_add_nc_u32_e32 v46, v3, v37
	v_lshrrev_b32_e32 v3, 2, v51
	v_add_nc_u32_e32 v47, v4, v37
	v_add_nc_u32_e32 v45, v1, v37
	v_and_b32_e32 v1, 0x3f8, v2
	v_lshrrev_b32_e32 v2, 2, v48
	v_and_b32_e32 v3, 0x3f8, v3
	v_lshrrev_b32_e32 v4, 2, v52
	v_add_nc_u32_e32 v42, v35, v37
	v_add_nc_u32_e32 v48, v1, v37
	v_and_b32_e32 v1, 0x3f8, v2
	v_lshrrev_b32_e32 v2, 2, v49
	v_add_nc_u32_e32 v52, v3, v37
	v_lshrrev_b32_e32 v3, 1, v0
	v_and_b32_e32 v4, 0x3f8, v4
	v_add_nc_u32_e32 v49, v1, v37
	v_and_b32_e32 v1, 0x3f8, v2
	v_lshrrev_b32_e32 v2, 2, v53
	ds_store_b64 v41, v[7:8] offset:6144
	ds_store_b64 v42, v[9:10] offset:8192
	v_add_nc_u32_e32 v53, v4, v37
	ds_store_b64 v43, v[11:12] offset:10240
	v_add_nc_u32_e32 v51, v1, v37
	v_and_b32_e32 v1, 0x3f8, v2
	v_lshlrev_b32_e32 v2, 4, v0
	ds_store_b64 v44, v[13:14] offset:12288
	ds_store_b64 v45, v[15:16] offset:14336
	;; [unrolled: 1-line block ×4, first 2 shown]
	v_add_nc_u32_e32 v54, v1, v37
	v_add_lshl_u32 v55, v3, v2, 3
	ds_store_b64 v48, v[21:22] offset:20480
	ds_store_b64 v49, v[23:24] offset:22528
	;; [unrolled: 1-line block ×6, first 2 shown]
	s_waitcnt lgkmcnt(0)
	s_barrier
	buffer_gl0_inv
	ds_load_2addr_b64 v[1:4], v55 offset1:1
	ds_load_2addr_b64 v[5:8], v55 offset0:2 offset1:3
	ds_load_2addr_b64 v[29:32], v55 offset0:4 offset1:5
	;; [unrolled: 1-line block ×5, first 2 shown]
	v_and_b32_e32 v35, 15, v56
	s_mov_b32 s16, exec_lo
	s_waitcnt lgkmcnt(5)
	v_add_f64 v[9:10], v[1:2], v[3:4]
	s_waitcnt lgkmcnt(4)
	s_delay_alu instid0(VALU_DEP_1) | instskip(NEXT) | instid1(VALU_DEP_1)
	v_add_f64 v[9:10], v[9:10], v[5:6]
	v_add_f64 v[9:10], v[9:10], v[7:8]
	s_waitcnt lgkmcnt(3)
	s_delay_alu instid0(VALU_DEP_1) | instskip(NEXT) | instid1(VALU_DEP_1)
	v_add_f64 v[9:10], v[9:10], v[29:30]
	;; [unrolled: 4-line block ×5, first 2 shown]
	v_add_f64 v[33:34], v[9:10], v[19:20]
	ds_load_2addr_b64 v[13:16], v55 offset0:12 offset1:13
	ds_load_2addr_b64 v[9:12], v55 offset0:14 offset1:15
	s_waitcnt lgkmcnt(0)
	s_barrier
	buffer_gl0_inv
	v_add_f64 v[33:34], v[33:34], v[13:14]
	s_delay_alu instid0(VALU_DEP_1) | instskip(NEXT) | instid1(VALU_DEP_1)
	v_add_f64 v[33:34], v[33:34], v[15:16]
	v_add_f64 v[33:34], v[33:34], v[9:10]
	s_delay_alu instid0(VALU_DEP_1) | instskip(NEXT) | instid1(VALU_DEP_1)
	v_add_f64 v[11:12], v[33:34], v[11:12]
	v_mov_b32_dpp v33, v11 row_shr:1 row_mask:0xf bank_mask:0xf
	s_delay_alu instid0(VALU_DEP_2)
	v_mov_b32_dpp v34, v12 row_shr:1 row_mask:0xf bank_mask:0xf
	v_cmpx_ne_u32_e32 0, v35
; %bb.33:
	s_delay_alu instid0(VALU_DEP_2)
	v_add_f64 v[11:12], v[11:12], v[33:34]
; %bb.34:
	s_or_b32 exec_lo, exec_lo, s16
	s_delay_alu instid0(VALU_DEP_1) | instskip(NEXT) | instid1(VALU_DEP_2)
	v_mov_b32_dpp v33, v11 row_shr:2 row_mask:0xf bank_mask:0xf
	v_mov_b32_dpp v34, v12 row_shr:2 row_mask:0xf bank_mask:0xf
	s_mov_b32 s16, exec_lo
	v_cmpx_lt_u32_e32 1, v35
; %bb.35:
	s_delay_alu instid0(VALU_DEP_2)
	v_add_f64 v[11:12], v[11:12], v[33:34]
; %bb.36:
	s_or_b32 exec_lo, exec_lo, s16
	s_delay_alu instid0(VALU_DEP_1) | instskip(NEXT) | instid1(VALU_DEP_2)
	v_mov_b32_dpp v33, v11 row_shr:4 row_mask:0xf bank_mask:0xf
	v_mov_b32_dpp v34, v12 row_shr:4 row_mask:0xf bank_mask:0xf
	s_mov_b32 s16, exec_lo
	v_cmpx_lt_u32_e32 3, v35
	;; [unrolled: 10-line block ×3, first 2 shown]
; %bb.39:
	s_delay_alu instid0(VALU_DEP_2)
	v_add_f64 v[11:12], v[11:12], v[33:34]
; %bb.40:
	s_or_b32 exec_lo, exec_lo, s16
	ds_swizzle_b32 v33, v11 offset:swizzle(BROADCAST,32,15)
	ds_swizzle_b32 v34, v12 offset:swizzle(BROADCAST,32,15)
	v_and_b32_e32 v35, 16, v56
	s_mov_b32 s16, exec_lo
	s_delay_alu instid0(VALU_DEP_1)
	v_cmpx_ne_u32_e32 0, v35
	s_cbranch_execz .LBB5_42
; %bb.41:
	s_waitcnt lgkmcnt(0)
	v_add_f64 v[11:12], v[11:12], v[33:34]
.LBB5_42:
	s_or_b32 exec_lo, exec_lo, s16
	s_waitcnt lgkmcnt(1)
	v_or_b32_e32 v33, 31, v0
	s_mov_b32 s16, exec_lo
	s_delay_alu instid0(VALU_DEP_1)
	v_cmpx_eq_u32_e64 v33, v0
	s_cbranch_execz .LBB5_44
; %bb.43:
	ds_store_b64 v50, v[11:12]
.LBB5_44:
	s_or_b32 exec_lo, exec_lo, s16
	s_delay_alu instid0(SALU_CYCLE_1)
	s_mov_b32 s16, exec_lo
	s_waitcnt lgkmcnt(0)
	s_barrier
	buffer_gl0_inv
	v_cmpx_gt_u32_e32 8, v0
	s_cbranch_execz .LBB5_52
; %bb.45:
	ds_load_b64 v[33:34], v37
	v_and_b32_e32 v57, 7, v56
	s_mov_b32 s17, exec_lo
	s_waitcnt lgkmcnt(0)
	v_mov_b32_dpp v35, v33 row_shr:1 row_mask:0xf bank_mask:0xf
	v_mov_b32_dpp v36, v34 row_shr:1 row_mask:0xf bank_mask:0xf
	v_cmpx_ne_u32_e32 0, v57
; %bb.46:
	s_delay_alu instid0(VALU_DEP_2)
	v_add_f64 v[33:34], v[33:34], v[35:36]
; %bb.47:
	s_or_b32 exec_lo, exec_lo, s17
	s_delay_alu instid0(VALU_DEP_1) | instskip(NEXT) | instid1(VALU_DEP_2)
	v_mov_b32_dpp v35, v33 row_shr:2 row_mask:0xf bank_mask:0xf
	v_mov_b32_dpp v36, v34 row_shr:2 row_mask:0xf bank_mask:0xf
	s_mov_b32 s17, exec_lo
	v_cmpx_lt_u32_e32 1, v57
; %bb.48:
	s_delay_alu instid0(VALU_DEP_2)
	v_add_f64 v[33:34], v[33:34], v[35:36]
; %bb.49:
	s_or_b32 exec_lo, exec_lo, s17
	s_delay_alu instid0(VALU_DEP_1) | instskip(NEXT) | instid1(VALU_DEP_2)
	v_mov_b32_dpp v35, v33 row_shr:4 row_mask:0xf bank_mask:0xf
	v_mov_b32_dpp v36, v34 row_shr:4 row_mask:0xf bank_mask:0xf
	s_mov_b32 s17, exec_lo
	v_cmpx_lt_u32_e32 3, v57
; %bb.50:
	s_delay_alu instid0(VALU_DEP_2)
	v_add_f64 v[33:34], v[33:34], v[35:36]
; %bb.51:
	s_or_b32 exec_lo, exec_lo, s17
	ds_store_b64 v37, v[33:34]
.LBB5_52:
	s_or_b32 exec_lo, exec_lo, s16
	v_dual_mov_b32 v33, s40 :: v_dual_mov_b32 v34, s41
	s_mov_b32 s16, exec_lo
	s_waitcnt lgkmcnt(0)
	s_barrier
	buffer_gl0_inv
	v_cmpx_lt_u32_e32 31, v0
	s_cbranch_execz .LBB5_54
; %bb.53:
	v_add_nc_u32_e32 v33, -8, v50
	ds_load_b64 v[33:34], v33
	s_waitcnt lgkmcnt(0)
	v_add_f64 v[33:34], v[33:34], s[40:41]
.LBB5_54:
	s_or_b32 exec_lo, exec_lo, s16
	s_delay_alu instid0(VALU_DEP_1) | instskip(SKIP_4) | instid1(VALU_DEP_1)
	v_add_f64 v[11:12], v[11:12], v[33:34]
	v_add_nc_u32_e32 v35, -1, v56
	s_barrier
	buffer_gl0_inv
	v_cmp_gt_i32_e64 s15, 0, v35
	v_cndmask_b32_e64 v35, v35, v56, s15
	v_cmp_eq_u32_e64 s15, 0, v56
	s_delay_alu instid0(VALU_DEP_2)
	v_lshlrev_b32_e32 v35, 2, v35
	ds_bpermute_b32 v11, v35, v11
	ds_bpermute_b32 v12, v35, v12
	s_waitcnt lgkmcnt(1)
	v_cndmask_b32_e64 v11, v11, v33, s15
	s_waitcnt lgkmcnt(0)
	v_cndmask_b32_e64 v12, v12, v34, s15
	v_cmp_eq_u32_e64 s15, 0, v0
	s_delay_alu instid0(VALU_DEP_1) | instskip(SKIP_1) | instid1(VALU_DEP_1)
	v_cndmask_b32_e64 v12, v12, s41, s15
	v_cndmask_b32_e64 v11, v11, s40, s15
	v_add_f64 v[0:1], v[1:2], v[11:12]
	s_delay_alu instid0(VALU_DEP_1) | instskip(NEXT) | instid1(VALU_DEP_1)
	v_add_f64 v[2:3], v[3:4], v[0:1]
	v_add_f64 v[4:5], v[5:6], v[2:3]
	s_delay_alu instid0(VALU_DEP_1) | instskip(NEXT) | instid1(VALU_DEP_1)
	v_add_f64 v[6:7], v[7:8], v[4:5]
	;; [unrolled: 3-line block ×7, first 2 shown]
	v_add_f64 v[8:9], v[9:10], v[15:16]
	ds_store_2addr_b64 v55, v[11:12], v[0:1] offset1:1
	ds_store_2addr_b64 v55, v[2:3], v[4:5] offset0:2 offset1:3
	ds_store_2addr_b64 v55, v[6:7], v[29:30] offset0:4 offset1:5
	ds_store_2addr_b64 v55, v[31:32], v[25:26] offset0:6 offset1:7
	ds_store_2addr_b64 v55, v[27:28], v[21:22] offset0:8 offset1:9
	ds_store_2addr_b64 v55, v[23:24], v[17:18] offset0:10 offset1:11
	ds_store_2addr_b64 v55, v[19:20], v[13:14] offset0:12 offset1:13
	ds_store_2addr_b64 v55, v[15:16], v[8:9] offset0:14 offset1:15
	s_waitcnt lgkmcnt(0)
	s_barrier
	buffer_gl0_inv
	ds_load_b64 v[30:31], v39 offset:2048
	ds_load_b64 v[28:29], v40 offset:4096
	;; [unrolled: 1-line block ×15, first 2 shown]
	v_add_co_u32 v2, s15, s42, v37
	s_delay_alu instid0(VALU_DEP_1)
	v_add_co_ci_u32_e64 v3, null, s43, 0, s15
	s_and_saveexec_b32 s15, vcc_lo
	s_cbranch_execnz .LBB5_71
; %bb.55:
	s_or_b32 exec_lo, exec_lo, s15
	s_and_saveexec_b32 s15, s0
	s_cbranch_execnz .LBB5_72
.LBB5_56:
	s_or_b32 exec_lo, exec_lo, s15
	s_and_saveexec_b32 s0, s1
	s_cbranch_execnz .LBB5_73
.LBB5_57:
	s_or_b32 exec_lo, exec_lo, s0
	s_and_saveexec_b32 s0, s2
	s_cbranch_execnz .LBB5_74
.LBB5_58:
	s_or_b32 exec_lo, exec_lo, s0
	s_and_saveexec_b32 s0, s3
	s_cbranch_execnz .LBB5_75
.LBB5_59:
	s_or_b32 exec_lo, exec_lo, s0
	s_and_saveexec_b32 s0, s4
	s_cbranch_execnz .LBB5_76
.LBB5_60:
	s_or_b32 exec_lo, exec_lo, s0
	s_and_saveexec_b32 s0, s5
	s_cbranch_execnz .LBB5_77
.LBB5_61:
	s_or_b32 exec_lo, exec_lo, s0
	s_and_saveexec_b32 s0, s6
	s_cbranch_execnz .LBB5_78
.LBB5_62:
	s_or_b32 exec_lo, exec_lo, s0
	s_and_saveexec_b32 s0, s7
	s_cbranch_execnz .LBB5_79
.LBB5_63:
	s_or_b32 exec_lo, exec_lo, s0
	s_and_saveexec_b32 s0, s8
	s_cbranch_execnz .LBB5_80
.LBB5_64:
	s_or_b32 exec_lo, exec_lo, s0
	s_and_saveexec_b32 s0, s9
	s_cbranch_execnz .LBB5_81
.LBB5_65:
	s_or_b32 exec_lo, exec_lo, s0
	s_and_saveexec_b32 s0, s10
	s_cbranch_execnz .LBB5_82
.LBB5_66:
	s_or_b32 exec_lo, exec_lo, s0
	s_and_saveexec_b32 s0, s11
	s_cbranch_execnz .LBB5_83
.LBB5_67:
	s_or_b32 exec_lo, exec_lo, s0
	s_and_saveexec_b32 s0, s12
	s_cbranch_execnz .LBB5_84
.LBB5_68:
	s_or_b32 exec_lo, exec_lo, s0
	s_and_saveexec_b32 s0, s13
	s_cbranch_execnz .LBB5_85
.LBB5_69:
	s_or_b32 exec_lo, exec_lo, s0
	s_and_saveexec_b32 s0, s14
	s_cbranch_execnz .LBB5_86
.LBB5_70:
	s_nop 0
	s_sendmsg sendmsg(MSG_DEALLOC_VGPRS)
	s_endpgm
.LBB5_71:
	ds_load_b64 v[32:33], v38
	s_waitcnt lgkmcnt(0)
	global_store_b64 v[2:3], v[32:33], off
	s_or_b32 exec_lo, exec_lo, s15
	s_and_saveexec_b32 s15, s0
	s_cbranch_execz .LBB5_56
.LBB5_72:
	s_waitcnt lgkmcnt(14)
	global_store_b64 v[2:3], v[30:31], off offset:2048
	s_or_b32 exec_lo, exec_lo, s15
	s_and_saveexec_b32 s0, s1
	s_cbranch_execz .LBB5_57
.LBB5_73:
	s_waitcnt lgkmcnt(14)
	v_add_co_u32 v30, vcc_lo, 0x1000, v2
	v_add_co_ci_u32_e32 v31, vcc_lo, 0, v3, vcc_lo
	s_waitcnt lgkmcnt(13)
	global_store_b64 v[30:31], v[28:29], off
	s_or_b32 exec_lo, exec_lo, s0
	s_and_saveexec_b32 s0, s2
	s_cbranch_execz .LBB5_58
.LBB5_74:
	s_waitcnt lgkmcnt(13)
	v_add_co_u32 v28, vcc_lo, 0x1000, v2
	v_add_co_ci_u32_e32 v29, vcc_lo, 0, v3, vcc_lo
	s_waitcnt lgkmcnt(12)
	global_store_b64 v[28:29], v[26:27], off offset:2048
	s_or_b32 exec_lo, exec_lo, s0
	s_and_saveexec_b32 s0, s3
	s_cbranch_execz .LBB5_59
.LBB5_75:
	s_waitcnt lgkmcnt(12)
	v_add_co_u32 v26, vcc_lo, 0x2000, v2
	v_add_co_ci_u32_e32 v27, vcc_lo, 0, v3, vcc_lo
	s_waitcnt lgkmcnt(11)
	global_store_b64 v[26:27], v[24:25], off
	s_or_b32 exec_lo, exec_lo, s0
	s_and_saveexec_b32 s0, s4
	s_cbranch_execz .LBB5_60
.LBB5_76:
	s_waitcnt lgkmcnt(11)
	v_add_co_u32 v24, vcc_lo, 0x2000, v2
	v_add_co_ci_u32_e32 v25, vcc_lo, 0, v3, vcc_lo
	s_waitcnt lgkmcnt(10)
	global_store_b64 v[24:25], v[22:23], off offset:2048
	s_or_b32 exec_lo, exec_lo, s0
	s_and_saveexec_b32 s0, s5
	s_cbranch_execz .LBB5_61
.LBB5_77:
	s_waitcnt lgkmcnt(10)
	v_add_co_u32 v22, vcc_lo, 0x3000, v2
	v_add_co_ci_u32_e32 v23, vcc_lo, 0, v3, vcc_lo
	s_waitcnt lgkmcnt(9)
	global_store_b64 v[22:23], v[20:21], off
	s_or_b32 exec_lo, exec_lo, s0
	s_and_saveexec_b32 s0, s6
	s_cbranch_execz .LBB5_62
.LBB5_78:
	s_waitcnt lgkmcnt(9)
	v_add_co_u32 v20, vcc_lo, 0x3000, v2
	v_add_co_ci_u32_e32 v21, vcc_lo, 0, v3, vcc_lo
	s_waitcnt lgkmcnt(8)
	global_store_b64 v[20:21], v[18:19], off offset:2048
	s_or_b32 exec_lo, exec_lo, s0
	s_and_saveexec_b32 s0, s7
	s_cbranch_execz .LBB5_63
.LBB5_79:
	s_waitcnt lgkmcnt(8)
	v_add_co_u32 v18, vcc_lo, 0x4000, v2
	v_add_co_ci_u32_e32 v19, vcc_lo, 0, v3, vcc_lo
	s_waitcnt lgkmcnt(7)
	global_store_b64 v[18:19], v[16:17], off
	s_or_b32 exec_lo, exec_lo, s0
	s_and_saveexec_b32 s0, s8
	s_cbranch_execz .LBB5_64
.LBB5_80:
	s_waitcnt lgkmcnt(7)
	v_add_co_u32 v16, vcc_lo, 0x4000, v2
	v_add_co_ci_u32_e32 v17, vcc_lo, 0, v3, vcc_lo
	s_waitcnt lgkmcnt(6)
	global_store_b64 v[16:17], v[14:15], off offset:2048
	s_or_b32 exec_lo, exec_lo, s0
	s_and_saveexec_b32 s0, s9
	s_cbranch_execz .LBB5_65
.LBB5_81:
	s_waitcnt lgkmcnt(6)
	v_add_co_u32 v14, vcc_lo, 0x5000, v2
	v_add_co_ci_u32_e32 v15, vcc_lo, 0, v3, vcc_lo
	s_waitcnt lgkmcnt(5)
	global_store_b64 v[14:15], v[12:13], off
	s_or_b32 exec_lo, exec_lo, s0
	s_and_saveexec_b32 s0, s10
	s_cbranch_execz .LBB5_66
.LBB5_82:
	s_waitcnt lgkmcnt(5)
	v_add_co_u32 v12, vcc_lo, 0x5000, v2
	v_add_co_ci_u32_e32 v13, vcc_lo, 0, v3, vcc_lo
	s_waitcnt lgkmcnt(4)
	global_store_b64 v[12:13], v[10:11], off offset:2048
	s_or_b32 exec_lo, exec_lo, s0
	s_and_saveexec_b32 s0, s11
	s_cbranch_execz .LBB5_67
.LBB5_83:
	s_waitcnt lgkmcnt(4)
	v_add_co_u32 v10, vcc_lo, 0x6000, v2
	v_add_co_ci_u32_e32 v11, vcc_lo, 0, v3, vcc_lo
	s_waitcnt lgkmcnt(3)
	global_store_b64 v[10:11], v[8:9], off
	s_or_b32 exec_lo, exec_lo, s0
	s_and_saveexec_b32 s0, s12
	s_cbranch_execz .LBB5_68
.LBB5_84:
	s_waitcnt lgkmcnt(3)
	v_add_co_u32 v8, vcc_lo, 0x6000, v2
	v_add_co_ci_u32_e32 v9, vcc_lo, 0, v3, vcc_lo
	s_waitcnt lgkmcnt(2)
	global_store_b64 v[8:9], v[6:7], off offset:2048
	s_or_b32 exec_lo, exec_lo, s0
	s_and_saveexec_b32 s0, s13
	s_cbranch_execz .LBB5_69
.LBB5_85:
	s_waitcnt lgkmcnt(2)
	v_add_co_u32 v6, vcc_lo, 0x7000, v2
	v_add_co_ci_u32_e32 v7, vcc_lo, 0, v3, vcc_lo
	s_waitcnt lgkmcnt(1)
	global_store_b64 v[6:7], v[4:5], off
	s_or_b32 exec_lo, exec_lo, s0
	s_and_saveexec_b32 s0, s14
	s_cbranch_execz .LBB5_70
.LBB5_86:
	v_add_co_u32 v2, vcc_lo, 0x7000, v2
	v_add_co_ci_u32_e32 v3, vcc_lo, 0, v3, vcc_lo
	s_waitcnt lgkmcnt(0)
	global_store_b64 v[2:3], v[0:1], off offset:2048
	s_nop 0
	s_sendmsg sendmsg(MSG_DEALLOC_VGPRS)
	s_endpgm
	.section	.rodata,"a",@progbits
	.p2align	6, 0x0
	.amdhsa_kernel _ZN7rocprim6detail18single_scan_kernelILb1ENS0_19wrapped_scan_configINS_14default_configEdEEPdS5_N4RAJA9operators4plusIdddEEddEEvT1_mT4_T2_T3_
		.amdhsa_group_segment_fixed_size 33792
		.amdhsa_private_segment_fixed_size 0
		.amdhsa_kernarg_size 36
		.amdhsa_user_sgpr_count 15
		.amdhsa_user_sgpr_dispatch_ptr 0
		.amdhsa_user_sgpr_queue_ptr 0
		.amdhsa_user_sgpr_kernarg_segment_ptr 1
		.amdhsa_user_sgpr_dispatch_id 0
		.amdhsa_user_sgpr_private_segment_size 0
		.amdhsa_wavefront_size32 1
		.amdhsa_uses_dynamic_stack 0
		.amdhsa_enable_private_segment 0
		.amdhsa_system_sgpr_workgroup_id_x 1
		.amdhsa_system_sgpr_workgroup_id_y 0
		.amdhsa_system_sgpr_workgroup_id_z 0
		.amdhsa_system_sgpr_workgroup_info 0
		.amdhsa_system_vgpr_workitem_id 0
		.amdhsa_next_free_vgpr 58
		.amdhsa_next_free_sgpr 44
		.amdhsa_reserve_vcc 1
		.amdhsa_float_round_mode_32 0
		.amdhsa_float_round_mode_16_64 0
		.amdhsa_float_denorm_mode_32 3
		.amdhsa_float_denorm_mode_16_64 3
		.amdhsa_dx10_clamp 1
		.amdhsa_ieee_mode 1
		.amdhsa_fp16_overflow 0
		.amdhsa_workgroup_processor_mode 1
		.amdhsa_memory_ordered 1
		.amdhsa_forward_progress 0
		.amdhsa_shared_vgpr_count 0
		.amdhsa_exception_fp_ieee_invalid_op 0
		.amdhsa_exception_fp_denorm_src 0
		.amdhsa_exception_fp_ieee_div_zero 0
		.amdhsa_exception_fp_ieee_overflow 0
		.amdhsa_exception_fp_ieee_underflow 0
		.amdhsa_exception_fp_ieee_inexact 0
		.amdhsa_exception_int_div_zero 0
	.end_amdhsa_kernel
	.section	.text._ZN7rocprim6detail18single_scan_kernelILb1ENS0_19wrapped_scan_configINS_14default_configEdEEPdS5_N4RAJA9operators4plusIdddEEddEEvT1_mT4_T2_T3_,"axG",@progbits,_ZN7rocprim6detail18single_scan_kernelILb1ENS0_19wrapped_scan_configINS_14default_configEdEEPdS5_N4RAJA9operators4plusIdddEEddEEvT1_mT4_T2_T3_,comdat
.Lfunc_end5:
	.size	_ZN7rocprim6detail18single_scan_kernelILb1ENS0_19wrapped_scan_configINS_14default_configEdEEPdS5_N4RAJA9operators4plusIdddEEddEEvT1_mT4_T2_T3_, .Lfunc_end5-_ZN7rocprim6detail18single_scan_kernelILb1ENS0_19wrapped_scan_configINS_14default_configEdEEPdS5_N4RAJA9operators4plusIdddEEddEEvT1_mT4_T2_T3_
                                        ; -- End function
	.section	.AMDGPU.csdata,"",@progbits
; Kernel info:
; codeLenInByte = 3960
; NumSgprs: 46
; NumVgprs: 58
; ScratchSize: 0
; MemoryBound: 1
; FloatMode: 240
; IeeeMode: 1
; LDSByteSize: 33792 bytes/workgroup (compile time only)
; SGPRBlocks: 5
; VGPRBlocks: 7
; NumSGPRsForWavesPerEU: 46
; NumVGPRsForWavesPerEU: 58
; Occupancy: 6
; WaveLimiterHint : 0
; COMPUTE_PGM_RSRC2:SCRATCH_EN: 0
; COMPUTE_PGM_RSRC2:USER_SGPR: 15
; COMPUTE_PGM_RSRC2:TRAP_HANDLER: 0
; COMPUTE_PGM_RSRC2:TGID_X_EN: 1
; COMPUTE_PGM_RSRC2:TGID_Y_EN: 0
; COMPUTE_PGM_RSRC2:TGID_Z_EN: 0
; COMPUTE_PGM_RSRC2:TIDIG_COMP_CNT: 0
	.section	.text._ZN8rajaperf9algorithm11scan_customILm256ELm15EEEvPdS2_S2_S2_Pjl,"axG",@progbits,_ZN8rajaperf9algorithm11scan_customILm256ELm15EEEvPdS2_S2_S2_Pjl,comdat
	.protected	_ZN8rajaperf9algorithm11scan_customILm256ELm15EEEvPdS2_S2_S2_Pjl ; -- Begin function _ZN8rajaperf9algorithm11scan_customILm256ELm15EEEvPdS2_S2_S2_Pjl
	.globl	_ZN8rajaperf9algorithm11scan_customILm256ELm15EEEvPdS2_S2_S2_Pjl
	.p2align	8
	.type	_ZN8rajaperf9algorithm11scan_customILm256ELm15EEEvPdS2_S2_S2_Pjl,@function
_ZN8rajaperf9algorithm11scan_customILm256ELm15EEEvPdS2_S2_S2_Pjl: ; @_ZN8rajaperf9algorithm11scan_customILm256ELm15EEEvPdS2_S2_S2_Pjl
; %bb.0:
	s_clause 0x1
	s_load_b128 s[28:31], s[0:1], 0x20
	s_load_b256 s[20:27], s[0:1], 0x0
	s_mul_i32 s2, s15, 0xf00
	s_mul_hi_i32 s3, s15, 0xf00
	v_or_b32_e32 v29, s2, v0
	v_dual_mov_b32 v30, s3 :: v_dual_mov_b32 v1, 0
	v_mov_b32_e32 v2, 0
	s_mov_b32 s18, s15
	s_delay_alu instid0(VALU_DEP_1) | instskip(SKIP_2) | instid1(VALU_DEP_1)
	v_dual_mov_b32 v4, v2 :: v_dual_mov_b32 v3, v1
	s_waitcnt lgkmcnt(0)
	v_cmp_gt_i64_e64 s2, s[30:31], v[29:30]
	s_and_saveexec_b32 s3, s2
	s_cbranch_execz .LBB6_2
; %bb.1:
	v_lshlrev_b64 v[3:4], 3, v[29:30]
	s_delay_alu instid0(VALU_DEP_1) | instskip(NEXT) | instid1(VALU_DEP_2)
	v_add_co_u32 v3, vcc_lo, s20, v3
	v_add_co_ci_u32_e32 v4, vcc_lo, s21, v4, vcc_lo
	global_load_b64 v[3:4], v[3:4], off
.LBB6_2:
	s_or_b32 exec_lo, exec_lo, s3
	v_add_co_u32 v5, vcc_lo, 0x100, v29
	v_add_co_ci_u32_e32 v6, vcc_lo, 0, v30, vcc_lo
	s_delay_alu instid0(VALU_DEP_1) | instskip(NEXT) | instid1(VALU_DEP_1)
	v_cmp_gt_i64_e64 s3, s[30:31], v[5:6]
	s_and_saveexec_b32 s4, s3
	s_cbranch_execz .LBB6_4
; %bb.3:
	v_lshlrev_b64 v[1:2], 3, v[29:30]
	s_delay_alu instid0(VALU_DEP_1) | instskip(NEXT) | instid1(VALU_DEP_2)
	v_add_co_u32 v1, vcc_lo, s20, v1
	v_add_co_ci_u32_e32 v2, vcc_lo, s21, v2, vcc_lo
	global_load_b64 v[1:2], v[1:2], off offset:2048
.LBB6_4:
	s_or_b32 exec_lo, exec_lo, s4
	v_add_co_u32 v31, vcc_lo, 0x200, v29
	v_add_co_ci_u32_e32 v32, vcc_lo, 0, v30, vcc_lo
	v_mov_b32_e32 v5, 0
	v_mov_b32_e32 v6, 0
	s_delay_alu instid0(VALU_DEP_3) | instskip(NEXT) | instid1(VALU_DEP_2)
	v_cmp_gt_i64_e64 s4, s[30:31], v[31:32]
	v_dual_mov_b32 v8, v6 :: v_dual_mov_b32 v7, v5
	s_delay_alu instid0(VALU_DEP_2)
	s_and_saveexec_b32 s5, s4
	s_cbranch_execz .LBB6_6
; %bb.5:
	v_lshlrev_b64 v[7:8], 3, v[31:32]
	s_delay_alu instid0(VALU_DEP_1) | instskip(NEXT) | instid1(VALU_DEP_2)
	v_add_co_u32 v7, vcc_lo, s20, v7
	v_add_co_ci_u32_e32 v8, vcc_lo, s21, v8, vcc_lo
	global_load_b64 v[7:8], v[7:8], off
.LBB6_6:
	s_or_b32 exec_lo, exec_lo, s5
	v_add_co_u32 v33, vcc_lo, 0x300, v29
	v_add_co_ci_u32_e32 v34, vcc_lo, 0, v30, vcc_lo
	s_delay_alu instid0(VALU_DEP_1) | instskip(NEXT) | instid1(VALU_DEP_1)
	v_cmp_gt_i64_e64 s5, s[30:31], v[33:34]
	s_and_saveexec_b32 s6, s5
	s_cbranch_execz .LBB6_8
; %bb.7:
	v_lshlrev_b64 v[5:6], 3, v[33:34]
	s_delay_alu instid0(VALU_DEP_1) | instskip(NEXT) | instid1(VALU_DEP_2)
	v_add_co_u32 v5, vcc_lo, s20, v5
	v_add_co_ci_u32_e32 v6, vcc_lo, s21, v6, vcc_lo
	global_load_b64 v[5:6], v[5:6], off
.LBB6_8:
	s_or_b32 exec_lo, exec_lo, s6
	v_add_co_u32 v35, vcc_lo, 0x400, v29
	v_add_co_ci_u32_e32 v36, vcc_lo, 0, v30, vcc_lo
	v_mov_b32_e32 v9, 0
	v_mov_b32_e32 v10, 0
	s_delay_alu instid0(VALU_DEP_3) | instskip(NEXT) | instid1(VALU_DEP_2)
	v_cmp_gt_i64_e64 s6, s[30:31], v[35:36]
	v_dual_mov_b32 v12, v10 :: v_dual_mov_b32 v11, v9
	s_delay_alu instid0(VALU_DEP_2)
	s_and_saveexec_b32 s7, s6
	s_cbranch_execz .LBB6_10
; %bb.9:
	v_lshlrev_b64 v[11:12], 3, v[35:36]
	s_delay_alu instid0(VALU_DEP_1) | instskip(NEXT) | instid1(VALU_DEP_2)
	v_add_co_u32 v11, vcc_lo, s20, v11
	v_add_co_ci_u32_e32 v12, vcc_lo, s21, v12, vcc_lo
	global_load_b64 v[11:12], v[11:12], off
.LBB6_10:
	s_or_b32 exec_lo, exec_lo, s7
	v_add_co_u32 v37, vcc_lo, 0x500, v29
	v_add_co_ci_u32_e32 v38, vcc_lo, 0, v30, vcc_lo
	s_delay_alu instid0(VALU_DEP_1) | instskip(NEXT) | instid1(VALU_DEP_1)
	v_cmp_gt_i64_e64 s7, s[30:31], v[37:38]
	s_and_saveexec_b32 s8, s7
	s_cbranch_execz .LBB6_12
; %bb.11:
	v_lshlrev_b64 v[9:10], 3, v[37:38]
	s_delay_alu instid0(VALU_DEP_1) | instskip(NEXT) | instid1(VALU_DEP_2)
	v_add_co_u32 v9, vcc_lo, s20, v9
	v_add_co_ci_u32_e32 v10, vcc_lo, s21, v10, vcc_lo
	global_load_b64 v[9:10], v[9:10], off
.LBB6_12:
	;; [unrolled: 32-line block ×6, first 2 shown]
	s_or_b32 exec_lo, exec_lo, s16
	v_add_co_u32 v55, vcc_lo, 0xe00, v29
	v_add_co_ci_u32_e32 v56, vcc_lo, 0, v30, vcc_lo
	v_mov_b32_e32 v57, 0
	v_mov_b32_e32 v58, 0
	s_delay_alu instid0(VALU_DEP_3) | instskip(NEXT) | instid1(VALU_DEP_1)
	v_cmp_gt_i64_e64 s16, s[30:31], v[55:56]
	s_and_saveexec_b32 s17, s16
	s_cbranch_execz .LBB6_30
; %bb.29:
	v_lshlrev_b64 v[57:58], 3, v[55:56]
	s_delay_alu instid0(VALU_DEP_1) | instskip(NEXT) | instid1(VALU_DEP_2)
	v_add_co_u32 v57, vcc_lo, s20, v57
	v_add_co_ci_u32_e32 v58, vcc_lo, s21, v58, vcc_lo
	global_load_b64 v[57:58], v[57:58], off
.LBB6_30:
	s_or_b32 exec_lo, exec_lo, s17
	v_lshlrev_b32_e32 v66, 3, v0
	s_load_b32 s0, s[0:1], 0x30
	v_mbcnt_lo_u32_b32 v67, -1, 0
	s_mov_b32 s1, exec_lo
	s_waitcnt vmcnt(0)
	ds_store_2addr_stride64_b64 v66, v[3:4], v[1:2] offset1:4
	ds_store_2addr_stride64_b64 v66, v[7:8], v[5:6] offset0:8 offset1:12
	ds_store_2addr_stride64_b64 v66, v[11:12], v[9:10] offset0:16 offset1:20
	ds_store_2addr_stride64_b64 v66, v[15:16], v[13:14] offset0:24 offset1:28
	ds_store_2addr_stride64_b64 v66, v[19:20], v[17:18] offset0:32 offset1:36
	ds_store_2addr_stride64_b64 v66, v[23:24], v[21:22] offset0:40 offset1:44
	ds_store_2addr_stride64_b64 v66, v[27:28], v[25:26] offset0:48 offset1:52
	v_mad_u32_u24 v65, 0x70, v0, v66
	ds_store_b64 v66, v[57:58] offset:28672
	s_waitcnt lgkmcnt(0)
	s_barrier
	buffer_gl0_inv
	ds_load_2addr_b64 v[1:4], v65 offset1:1
	ds_load_2addr_b64 v[5:8], v65 offset0:2 offset1:3
	ds_load_2addr_b64 v[25:28], v65 offset0:4 offset1:5
	;; [unrolled: 1-line block ×5, first 2 shown]
	v_and_b32_e32 v63, 15, v67
	s_waitcnt lgkmcnt(5)
	v_add_f64 v[9:10], v[1:2], v[3:4]
	s_waitcnt lgkmcnt(4)
	s_delay_alu instid0(VALU_DEP_1) | instskip(NEXT) | instid1(VALU_DEP_1)
	v_add_f64 v[9:10], v[9:10], v[5:6]
	v_add_f64 v[9:10], v[9:10], v[7:8]
	s_waitcnt lgkmcnt(3)
	s_delay_alu instid0(VALU_DEP_1) | instskip(NEXT) | instid1(VALU_DEP_1)
	v_add_f64 v[9:10], v[9:10], v[25:26]
	;; [unrolled: 4-line block ×5, first 2 shown]
	v_add_f64 v[59:60], v[9:10], v[15:16]
	ds_load_2addr_b64 v[9:12], v65 offset0:12 offset1:13
	ds_load_b64 v[57:58], v65 offset:112
	s_waitcnt lgkmcnt(0)
	s_barrier
	buffer_gl0_inv
	v_add_f64 v[59:60], v[59:60], v[9:10]
	s_delay_alu instid0(VALU_DEP_1) | instskip(NEXT) | instid1(VALU_DEP_1)
	v_add_f64 v[59:60], v[59:60], v[11:12]
	v_add_f64 v[59:60], v[59:60], v[57:58]
	s_delay_alu instid0(VALU_DEP_1) | instskip(NEXT) | instid1(VALU_DEP_2)
	v_mov_b32_dpp v61, v59 row_shr:1 row_mask:0xf bank_mask:0xf
	v_mov_b32_dpp v62, v60 row_shr:1 row_mask:0xf bank_mask:0xf
	v_cmpx_ne_u32_e32 0, v63
	s_xor_b32 s1, exec_lo, s1
; %bb.31:
	s_delay_alu instid0(VALU_DEP_2)
	v_add_f64 v[59:60], v[59:60], v[61:62]
; %bb.32:
	s_or_b32 exec_lo, exec_lo, s1
	s_delay_alu instid0(VALU_DEP_1) | instskip(NEXT) | instid1(VALU_DEP_2)
	v_mov_b32_dpp v61, v59 row_shr:2 row_mask:0xf bank_mask:0xf
	v_mov_b32_dpp v62, v60 row_shr:2 row_mask:0xf bank_mask:0xf
	s_mov_b32 s1, exec_lo
	v_cmpx_lt_u32_e32 1, v63
; %bb.33:
	s_delay_alu instid0(VALU_DEP_2)
	v_add_f64 v[59:60], v[59:60], v[61:62]
; %bb.34:
	s_or_b32 exec_lo, exec_lo, s1
	s_delay_alu instid0(VALU_DEP_1) | instskip(NEXT) | instid1(VALU_DEP_2)
	v_mov_b32_dpp v61, v59 row_shr:4 row_mask:0xf bank_mask:0xf
	v_mov_b32_dpp v62, v60 row_shr:4 row_mask:0xf bank_mask:0xf
	s_mov_b32 s1, exec_lo
	v_cmpx_lt_u32_e32 3, v63
	;; [unrolled: 10-line block ×3, first 2 shown]
; %bb.37:
	s_delay_alu instid0(VALU_DEP_2)
	v_add_f64 v[59:60], v[59:60], v[61:62]
; %bb.38:
	s_or_b32 exec_lo, exec_lo, s1
	ds_swizzle_b32 v61, v59 offset:swizzle(BROADCAST,32,15)
	ds_swizzle_b32 v62, v60 offset:swizzle(BROADCAST,32,15)
	v_and_b32_e32 v63, 16, v67
	s_mov_b32 s1, exec_lo
	s_delay_alu instid0(VALU_DEP_1)
	v_cmpx_ne_u32_e32 0, v63
	s_cbranch_execz .LBB6_40
; %bb.39:
	s_waitcnt lgkmcnt(0)
	v_add_f64 v[59:60], v[59:60], v[61:62]
.LBB6_40:
	s_or_b32 exec_lo, exec_lo, s1
	s_waitcnt lgkmcnt(1)
	v_or_b32_e32 v61, 31, v0
	v_lshrrev_b32_e32 v68, 5, v0
	s_ashr_i32 s19, s18, 31
	s_mov_b32 s1, exec_lo
	s_delay_alu instid0(VALU_DEP_2)
	v_cmpx_eq_u32_e64 v61, v0
	s_cbranch_execz .LBB6_42
; %bb.41:
	v_lshlrev_b32_e32 v61, 3, v68
	ds_store_b64 v61, v[59:60]
.LBB6_42:
	s_or_b32 exec_lo, exec_lo, s1
	s_delay_alu instid0(SALU_CYCLE_1)
	s_mov_b32 s1, exec_lo
	s_waitcnt lgkmcnt(0)
	s_barrier
	buffer_gl0_inv
	v_cmpx_gt_u32_e32 8, v0
	s_cbranch_execz .LBB6_50
; %bb.43:
	ds_load_b64 v[61:62], v66
	v_and_b32_e32 v69, 7, v67
	s_mov_b32 s17, exec_lo
	s_waitcnt lgkmcnt(0)
	v_mov_b32_dpp v63, v61 row_shr:1 row_mask:0xf bank_mask:0xf
	v_mov_b32_dpp v64, v62 row_shr:1 row_mask:0xf bank_mask:0xf
	v_cmpx_ne_u32_e32 0, v69
; %bb.44:
	s_delay_alu instid0(VALU_DEP_2)
	v_add_f64 v[61:62], v[61:62], v[63:64]
; %bb.45:
	s_or_b32 exec_lo, exec_lo, s17
	s_delay_alu instid0(VALU_DEP_1) | instskip(NEXT) | instid1(VALU_DEP_2)
	v_mov_b32_dpp v63, v61 row_shr:2 row_mask:0xf bank_mask:0xf
	v_mov_b32_dpp v64, v62 row_shr:2 row_mask:0xf bank_mask:0xf
	s_mov_b32 s17, exec_lo
	v_cmpx_lt_u32_e32 1, v69
; %bb.46:
	s_delay_alu instid0(VALU_DEP_2)
	v_add_f64 v[61:62], v[61:62], v[63:64]
; %bb.47:
	s_or_b32 exec_lo, exec_lo, s17
	s_delay_alu instid0(VALU_DEP_1) | instskip(NEXT) | instid1(VALU_DEP_2)
	v_mov_b32_dpp v63, v61 row_shr:4 row_mask:0xf bank_mask:0xf
	v_mov_b32_dpp v64, v62 row_shr:4 row_mask:0xf bank_mask:0xf
	s_mov_b32 s17, exec_lo
	v_cmpx_lt_u32_e32 3, v69
; %bb.48:
	s_delay_alu instid0(VALU_DEP_2)
	v_add_f64 v[61:62], v[61:62], v[63:64]
; %bb.49:
	s_or_b32 exec_lo, exec_lo, s17
	ds_store_b64 v66, v[61:62]
.LBB6_50:
	s_or_b32 exec_lo, exec_lo, s1
	v_mov_b32_e32 v61, 0
	v_mov_b32_e32 v62, 0
	s_mov_b32 s1, exec_lo
	s_waitcnt lgkmcnt(0)
	s_barrier
	buffer_gl0_inv
	v_cmpx_lt_u32_e32 31, v0
	s_cbranch_execz .LBB6_52
; %bb.51:
	v_lshl_add_u32 v61, v68, 3, -8
	ds_load_b64 v[61:62], v61
	s_waitcnt lgkmcnt(0)
	v_add_f64 v[61:62], v[61:62], 0
.LBB6_52:
	s_or_b32 exec_lo, exec_lo, s1
	s_delay_alu instid0(VALU_DEP_1)
	v_add_f64 v[59:60], v[59:60], v[61:62]
	v_add_nc_u32_e32 v63, -1, v67
	v_mad_i32_i24 v91, 0xffffff90, v0, v65
	s_barrier
	buffer_gl0_inv
	v_cmp_gt_i32_e32 vcc_lo, 0, v63
	s_add_i32 s0, s0, -1
	s_mov_b32 s17, 0
	s_cmp_lg_u32 s0, s18
	s_mov_b32 s0, -1
	v_cndmask_b32_e32 v63, v63, v67, vcc_lo
	v_cmp_eq_u32_e32 vcc_lo, 0, v67
	s_cselect_b32 s1, -1, 0
	s_delay_alu instid0(VALU_DEP_2)
	v_lshlrev_b32_e32 v63, 2, v63
	ds_bpermute_b32 v59, v63, v59
	ds_bpermute_b32 v60, v63, v60
	s_waitcnt lgkmcnt(0)
	v_dual_cndmask_b32 v59, v59, v61 :: v_dual_cndmask_b32 v60, v60, v62
	v_cmp_ne_u32_e32 vcc_lo, 0, v0
	s_delay_alu instid0(VALU_DEP_2) | instskip(SKIP_1) | instid1(VALU_DEP_2)
	v_dual_cndmask_b32 v60, 0, v60 :: v_dual_cndmask_b32 v59, 0, v59
	v_cmp_eq_u32_e32 vcc_lo, 0xff, v0
	v_add_f64 v[1:2], v[1:2], v[59:60]
	s_and_b32 s1, vcc_lo, s1
	s_cmp_lg_u32 s18, 0
	s_delay_alu instid0(VALU_DEP_1) | instskip(SKIP_1) | instid1(VALU_DEP_2)
	v_add_f64 v[3:4], v[3:4], v[1:2]
	v_mov_b32_e32 v68, v2
	v_add_f64 v[5:6], v[5:6], v[3:4]
	v_mov_b32_e32 v70, v4
	ds_store_2addr_b64 v65, v[59:60], v[1:2] offset1:1
	ds_store_2addr_b64 v65, v[3:4], v[5:6] offset0:2 offset1:3
	v_mov_b32_e32 v60, v6
	v_add_f64 v[7:8], v[7:8], v[5:6]
	s_delay_alu instid0(VALU_DEP_1) | instskip(NEXT) | instid1(VALU_DEP_2)
	v_dual_mov_b32 v67, v1 :: v_dual_mov_b32 v72, v8
	v_add_f64 v[25:26], v[25:26], v[7:8]
	s_delay_alu instid0(VALU_DEP_1) | instskip(NEXT) | instid1(VALU_DEP_2)
	v_dual_mov_b32 v69, v3 :: v_dual_mov_b32 v74, v26
	;; [unrolled: 3-line block ×3, first 2 shown]
	v_add_f64 v[21:22], v[21:22], v[27:28]
	v_mov_b32_e32 v71, v7
	ds_store_2addr_b64 v65, v[7:8], v[25:26] offset0:4 offset1:5
	ds_store_2addr_b64 v65, v[27:28], v[21:22] offset0:6 offset1:7
	v_mov_b32_e32 v78, v22
	v_add_f64 v[23:24], v[23:24], v[21:22]
	s_delay_alu instid0(VALU_DEP_1) | instskip(NEXT) | instid1(VALU_DEP_2)
	v_dual_mov_b32 v73, v25 :: v_dual_mov_b32 v80, v24
	v_add_f64 v[17:18], v[17:18], v[23:24]
	s_delay_alu instid0(VALU_DEP_1) | instskip(NEXT) | instid1(VALU_DEP_2)
	v_dual_mov_b32 v75, v27 :: v_dual_mov_b32 v82, v18
	;; [unrolled: 3-line block ×3, first 2 shown]
	v_add_f64 v[13:14], v[13:14], v[19:20]
	v_mov_b32_e32 v79, v23
	ds_store_2addr_b64 v65, v[23:24], v[17:18] offset0:8 offset1:9
	ds_store_2addr_b64 v65, v[19:20], v[13:14] offset0:10 offset1:11
	v_mov_b32_e32 v86, v14
	v_add_f64 v[15:16], v[15:16], v[13:14]
	v_mov_b32_e32 v81, v17
	s_delay_alu instid0(VALU_DEP_2) | instskip(NEXT) | instid1(VALU_DEP_3)
	v_dual_mov_b32 v85, v13 :: v_dual_mov_b32 v88, v16
	v_add_f64 v[9:10], v[9:10], v[15:16]
	v_mov_b32_e32 v83, v19
	s_delay_alu instid0(VALU_DEP_2) | instskip(NEXT) | instid1(VALU_DEP_3)
	v_dual_mov_b32 v87, v15 :: v_dual_mov_b32 v90, v10
	v_add_f64 v[63:64], v[11:12], v[9:10]
	v_mov_b32_e32 v89, v9
	ds_store_2addr_b64 v65, v[15:16], v[9:10] offset0:12 offset1:13
	ds_store_b64 v65, v[63:64] offset:112
	v_add_f64 v[57:58], v[57:58], v[63:64]
	s_waitcnt lgkmcnt(0)
	s_barrier
	buffer_gl0_inv
	ds_load_b64 v[61:62], v66
	ds_load_2addr_stride64_b64 v[1:4], v91 offset0:4 offset1:8
	ds_load_2addr_stride64_b64 v[5:8], v91 offset0:12 offset1:16
	;; [unrolled: 1-line block ×7, first 2 shown]
	s_waitcnt lgkmcnt(0)
	s_barrier
	buffer_gl0_inv
	ds_store_2addr_b64 v65, v[67:68], v[69:70] offset1:1
	ds_store_2addr_b64 v65, v[59:60], v[71:72] offset0:2 offset1:3
	ds_store_2addr_b64 v65, v[73:74], v[75:76] offset0:4 offset1:5
	;; [unrolled: 1-line block ×6, first 2 shown]
	ds_store_b64 v65, v[57:58] offset:112
	s_waitcnt lgkmcnt(0)
	s_barrier
	buffer_gl0_inv
	ds_load_b64 v[69:70], v91 offset:28672
	s_waitcnt lgkmcnt(0)
	s_barrier
	buffer_gl0_inv
	s_cbranch_scc0 .LBB6_70
; %bb.53:
	s_and_saveexec_b32 s0, s1
	s_cbranch_execz .LBB6_55
; %bb.54:
	s_lshl_b64 s[20:21], s[18:19], 3
	v_dual_mov_b32 v57, 0 :: v_dual_mov_b32 v58, 1
	s_add_u32 s20, s24, s20
	s_addc_u32 s21, s25, s21
	s_lshl_b64 s[30:31], s[18:19], 2
	global_store_b64 v57, v[69:70], s[20:21]
	s_add_u32 s30, s28, s30
	s_addc_u32 s31, s29, s31
	s_waitcnt_vscnt null, 0x0
	buffer_gl1_inv
	buffer_gl0_inv
	global_atomic_swap_b32 v57, v58, s[30:31]
.LBB6_55:
	s_or_b32 exec_lo, exec_lo, s0
	s_delay_alu instid0(SALU_CYCLE_1)
	s_mov_b32 s0, exec_lo
                                        ; implicit-def: $vgpr57_vgpr58
                                        ; implicit-def: $vgpr59_vgpr60
                                        ; implicit-def: $vgpr63_vgpr64
                                        ; implicit-def: $vgpr65_vgpr66
                                        ; implicit-def: $vgpr67_vgpr68
                                        ; implicit-def: $vgpr71_vgpr72
                                        ; implicit-def: $vgpr73_vgpr74
                                        ; implicit-def: $vgpr75_vgpr76
                                        ; implicit-def: $vgpr77_vgpr78
                                        ; implicit-def: $vgpr79_vgpr80
                                        ; implicit-def: $vgpr81_vgpr82
                                        ; implicit-def: $vgpr83_vgpr84
                                        ; implicit-def: $vgpr85_vgpr86
                                        ; implicit-def: $vgpr87_vgpr88
                                        ; implicit-def: $vgpr89_vgpr90
	v_cmpx_gt_u32_e32 0xc0, v0
	s_xor_b32 s0, exec_lo, s0
	s_cbranch_execz .LBB6_57
; %bb.56:
	s_mov_b64 s[20:21], src_shared_base
	s_delay_alu instid0(SALU_CYCLE_1)
	v_dual_mov_b32 v57, 0 :: v_dual_mov_b32 v58, s21
	s_waitcnt_vscnt null, 0x0
	s_barrier
	buffer_gl0_inv
	s_mov_b32 s17, exec_lo
	flat_load_b64 v[57:58], v[57:58] glc dlc
	s_waitcnt vmcnt(0)
                                        ; implicit-def: $vgpr0
	s_waitcnt vmcnt(0) lgkmcnt(0)
	v_add_f64 v[89:90], v[61:62], v[57:58]
	v_add_f64 v[87:88], v[1:2], v[57:58]
	;; [unrolled: 1-line block ×15, first 2 shown]
.LBB6_57:
	s_and_not1_saveexec_b32 s19, s0
	s_cbranch_execz .LBB6_67
; %bb.58:
	v_and_b32_e32 v0, 63, v0
	s_sub_i32 s0, s18, 64
	s_mov_b32 s18, 0
	s_cmp_lt_i32 s0, 0
	s_delay_alu instid0(VALU_DEP_1)
	v_add_nc_u32_e32 v57, s0, v0
	s_mov_b32 s0, -1
	s_cbranch_scc0 .LBB6_63
; %bb.59:
	v_mov_b32_e32 v58, 0
	s_delay_alu instid0(VALU_DEP_2) | instskip(NEXT) | instid1(VALU_DEP_2)
	v_cmp_lt_i32_e64 s0, -1, v57
	v_lshlrev_b64 v[59:60], 2, v[57:58]
	v_mov_b32_e32 v58, 11
	s_delay_alu instid0(VALU_DEP_2) | instskip(NEXT) | instid1(VALU_DEP_3)
	v_add_co_u32 v63, vcc_lo, s28, v59
	v_add_co_ci_u32_e32 v64, vcc_lo, s29, v60, vcc_lo
	s_delay_alu instid0(VALU_DEP_3)
	v_mov_b32_e32 v59, v58
	s_mov_b32 vcc_lo, 0
.LBB6_60:                               ; =>This Inner Loop Header: Depth=1
	s_and_b32 s20, exec_lo, s0
	s_delay_alu instid0(SALU_CYCLE_1) | instskip(NEXT) | instid1(SALU_CYCLE_1)
	s_or_b32 s18, s20, s18
	s_and_not1_b32 exec_lo, exec_lo, s18
	s_cbranch_execnz .LBB6_60
; %bb.61:                               ;   in Loop: Header=BB6_60 Depth=1
	s_or_b32 exec_lo, exec_lo, s18
	global_atomic_cmpswap_b32 v[63:64], v[58:59], off
	s_mov_b32 s18, 0
	s_cbranch_vccz .LBB6_60
; %bb.62:
	s_mov_b32 s0, 0
.LBB6_63:
	s_delay_alu instid0(SALU_CYCLE_1)
	s_and_b32 vcc_lo, exec_lo, s0
	s_cbranch_vccz .LBB6_66
; %bb.64:
	v_mov_b32_e32 v58, 0
	s_delay_alu instid0(VALU_DEP_1) | instskip(SKIP_1) | instid1(VALU_DEP_1)
	v_lshlrev_b64 v[59:60], 2, v[57:58]
	v_mov_b32_e32 v57, 11
	v_mov_b32_e32 v58, v57
	s_delay_alu instid0(VALU_DEP_3) | instskip(NEXT) | instid1(VALU_DEP_4)
	v_add_co_u32 v59, vcc_lo, s28, v59
	v_add_co_ci_u32_e32 v60, vcc_lo, s29, v60, vcc_lo
	s_mov_b32 vcc_lo, 0
.LBB6_65:                               ; =>This Inner Loop Header: Depth=1
	global_atomic_cmpswap_b32 v[59:60], v[57:58], off
	s_cbranch_vccz .LBB6_65
.LBB6_66:
                                        ; implicit-def: $vgpr57_vgpr58
                                        ; implicit-def: $vgpr59_vgpr60
                                        ; implicit-def: $vgpr63_vgpr64
                                        ; implicit-def: $vgpr65_vgpr66
                                        ; implicit-def: $vgpr67_vgpr68
                                        ; implicit-def: $vgpr71_vgpr72
                                        ; implicit-def: $vgpr73_vgpr74
                                        ; implicit-def: $vgpr75_vgpr76
                                        ; implicit-def: $vgpr77_vgpr78
                                        ; implicit-def: $vgpr79_vgpr80
                                        ; implicit-def: $vgpr81_vgpr82
                                        ; implicit-def: $vgpr83_vgpr84
                                        ; implicit-def: $vgpr85_vgpr86
                                        ; implicit-def: $vgpr87_vgpr88
                                        ; implicit-def: $vgpr89_vgpr90
.LBB6_67:
	s_or_b32 exec_lo, exec_lo, s19
.LBB6_68:
	s_and_saveexec_b32 s0, s17
	s_cbranch_execnz .LBB6_74
.LBB6_69:
	s_nop 0
	s_sendmsg sendmsg(MSG_DEALLOC_VGPRS)
	s_endpgm
.LBB6_70:
                                        ; implicit-def: $vgpr57_vgpr58
                                        ; implicit-def: $vgpr59_vgpr60
                                        ; implicit-def: $vgpr63_vgpr64
                                        ; implicit-def: $vgpr65_vgpr66
                                        ; implicit-def: $vgpr67_vgpr68
                                        ; implicit-def: $vgpr71_vgpr72
                                        ; implicit-def: $vgpr73_vgpr74
                                        ; implicit-def: $vgpr75_vgpr76
                                        ; implicit-def: $vgpr77_vgpr78
                                        ; implicit-def: $vgpr79_vgpr80
                                        ; implicit-def: $vgpr81_vgpr82
                                        ; implicit-def: $vgpr83_vgpr84
                                        ; implicit-def: $vgpr85_vgpr86
                                        ; implicit-def: $vgpr87_vgpr88
                                        ; implicit-def: $vgpr89_vgpr90
	s_and_b32 vcc_lo, exec_lo, s0
	s_cbranch_vccz .LBB6_68
; %bb.71:
	s_and_saveexec_b32 s0, s1
	s_cbranch_execz .LBB6_73
; %bb.72:
	v_dual_mov_b32 v0, 0 :: v_dual_mov_b32 v57, 2
	s_clause 0x1
	global_store_b64 v0, v[69:70], s[24:25]
	global_store_b64 v0, v[69:70], s[26:27]
	s_waitcnt_vscnt null, 0x0
	buffer_gl1_inv
	buffer_gl0_inv
	global_atomic_swap_b32 v0, v57, s[28:29]
.LBB6_73:
	s_or_b32 exec_lo, exec_lo, s0
	v_dual_mov_b32 v58, v28 :: v_dual_mov_b32 v57, v27
	v_dual_mov_b32 v60, v26 :: v_dual_mov_b32 v59, v25
	;; [unrolled: 1-line block ×15, first 2 shown]
	s_mov_b32 s17, -1
	s_delay_alu instid0(SALU_CYCLE_1)
	s_and_saveexec_b32 s0, s17
	s_cbranch_execz .LBB6_69
.LBB6_74:
	s_and_saveexec_b32 s0, s2
	s_cbranch_execnz .LBB6_89
; %bb.75:
	s_or_b32 exec_lo, exec_lo, s0
	s_and_saveexec_b32 s0, s3
	s_cbranch_execnz .LBB6_90
.LBB6_76:
	s_or_b32 exec_lo, exec_lo, s0
	s_and_saveexec_b32 s0, s4
	s_cbranch_execnz .LBB6_91
.LBB6_77:
	s_or_b32 exec_lo, exec_lo, s0
	s_and_saveexec_b32 s0, s5
	s_cbranch_execnz .LBB6_92
.LBB6_78:
	s_or_b32 exec_lo, exec_lo, s0
	s_and_saveexec_b32 s0, s6
	s_cbranch_execnz .LBB6_93
.LBB6_79:
	s_or_b32 exec_lo, exec_lo, s0
	s_and_saveexec_b32 s0, s7
	s_cbranch_execnz .LBB6_94
.LBB6_80:
	s_or_b32 exec_lo, exec_lo, s0
	s_and_saveexec_b32 s0, s8
	s_cbranch_execnz .LBB6_95
.LBB6_81:
	s_or_b32 exec_lo, exec_lo, s0
	s_and_saveexec_b32 s0, s9
	s_cbranch_execnz .LBB6_96
.LBB6_82:
	s_or_b32 exec_lo, exec_lo, s0
	s_and_saveexec_b32 s0, s10
	s_cbranch_execnz .LBB6_97
.LBB6_83:
	s_or_b32 exec_lo, exec_lo, s0
	s_and_saveexec_b32 s0, s11
	s_cbranch_execnz .LBB6_98
.LBB6_84:
	s_or_b32 exec_lo, exec_lo, s0
	s_and_saveexec_b32 s0, s12
	s_cbranch_execnz .LBB6_99
.LBB6_85:
	s_or_b32 exec_lo, exec_lo, s0
	s_and_saveexec_b32 s0, s13
	s_cbranch_execnz .LBB6_100
.LBB6_86:
	s_or_b32 exec_lo, exec_lo, s0
	s_and_saveexec_b32 s0, s14
	s_cbranch_execnz .LBB6_101
.LBB6_87:
	s_or_b32 exec_lo, exec_lo, s0
	s_and_saveexec_b32 s0, s15
	s_cbranch_execnz .LBB6_102
.LBB6_88:
	s_or_b32 exec_lo, exec_lo, s0
	s_delay_alu instid0(SALU_CYCLE_1)
	s_and_b32 exec_lo, exec_lo, s16
	s_cbranch_execz .LBB6_69
	s_branch .LBB6_103
.LBB6_89:
	v_lshlrev_b64 v[0:1], 3, v[29:30]
	s_delay_alu instid0(VALU_DEP_1) | instskip(NEXT) | instid1(VALU_DEP_2)
	v_add_co_u32 v0, vcc_lo, s22, v0
	v_add_co_ci_u32_e32 v1, vcc_lo, s23, v1, vcc_lo
	global_store_b64 v[0:1], v[89:90], off
	s_or_b32 exec_lo, exec_lo, s0
	s_and_saveexec_b32 s0, s3
	s_cbranch_execz .LBB6_76
.LBB6_90:
	v_lshlrev_b64 v[0:1], 3, v[29:30]
	s_delay_alu instid0(VALU_DEP_1) | instskip(NEXT) | instid1(VALU_DEP_2)
	v_add_co_u32 v0, vcc_lo, s22, v0
	v_add_co_ci_u32_e32 v1, vcc_lo, s23, v1, vcc_lo
	global_store_b64 v[0:1], v[87:88], off offset:2048
	s_or_b32 exec_lo, exec_lo, s0
	s_and_saveexec_b32 s0, s4
	s_cbranch_execz .LBB6_77
.LBB6_91:
	v_lshlrev_b64 v[0:1], 3, v[31:32]
	s_delay_alu instid0(VALU_DEP_1) | instskip(NEXT) | instid1(VALU_DEP_2)
	v_add_co_u32 v0, vcc_lo, s22, v0
	v_add_co_ci_u32_e32 v1, vcc_lo, s23, v1, vcc_lo
	global_store_b64 v[0:1], v[85:86], off
	s_or_b32 exec_lo, exec_lo, s0
	s_and_saveexec_b32 s0, s5
	s_cbranch_execz .LBB6_78
.LBB6_92:
	v_lshlrev_b64 v[0:1], 3, v[33:34]
	s_delay_alu instid0(VALU_DEP_1) | instskip(NEXT) | instid1(VALU_DEP_2)
	v_add_co_u32 v0, vcc_lo, s22, v0
	v_add_co_ci_u32_e32 v1, vcc_lo, s23, v1, vcc_lo
	global_store_b64 v[0:1], v[83:84], off
	s_or_b32 exec_lo, exec_lo, s0
	s_and_saveexec_b32 s0, s6
	s_cbranch_execz .LBB6_79
.LBB6_93:
	v_lshlrev_b64 v[0:1], 3, v[35:36]
	s_delay_alu instid0(VALU_DEP_1) | instskip(NEXT) | instid1(VALU_DEP_2)
	v_add_co_u32 v0, vcc_lo, s22, v0
	v_add_co_ci_u32_e32 v1, vcc_lo, s23, v1, vcc_lo
	global_store_b64 v[0:1], v[81:82], off
	s_or_b32 exec_lo, exec_lo, s0
	s_and_saveexec_b32 s0, s7
	s_cbranch_execz .LBB6_80
.LBB6_94:
	v_lshlrev_b64 v[0:1], 3, v[37:38]
	s_delay_alu instid0(VALU_DEP_1) | instskip(NEXT) | instid1(VALU_DEP_2)
	v_add_co_u32 v0, vcc_lo, s22, v0
	v_add_co_ci_u32_e32 v1, vcc_lo, s23, v1, vcc_lo
	global_store_b64 v[0:1], v[79:80], off
	s_or_b32 exec_lo, exec_lo, s0
	s_and_saveexec_b32 s0, s8
	s_cbranch_execz .LBB6_81
.LBB6_95:
	v_lshlrev_b64 v[0:1], 3, v[39:40]
	s_delay_alu instid0(VALU_DEP_1) | instskip(NEXT) | instid1(VALU_DEP_2)
	v_add_co_u32 v0, vcc_lo, s22, v0
	v_add_co_ci_u32_e32 v1, vcc_lo, s23, v1, vcc_lo
	global_store_b64 v[0:1], v[77:78], off
	s_or_b32 exec_lo, exec_lo, s0
	s_and_saveexec_b32 s0, s9
	s_cbranch_execz .LBB6_82
.LBB6_96:
	v_lshlrev_b64 v[0:1], 3, v[41:42]
	s_delay_alu instid0(VALU_DEP_1) | instskip(NEXT) | instid1(VALU_DEP_2)
	v_add_co_u32 v0, vcc_lo, s22, v0
	v_add_co_ci_u32_e32 v1, vcc_lo, s23, v1, vcc_lo
	global_store_b64 v[0:1], v[75:76], off
	s_or_b32 exec_lo, exec_lo, s0
	s_and_saveexec_b32 s0, s10
	s_cbranch_execz .LBB6_83
.LBB6_97:
	v_lshlrev_b64 v[0:1], 3, v[43:44]
	s_delay_alu instid0(VALU_DEP_1) | instskip(NEXT) | instid1(VALU_DEP_2)
	v_add_co_u32 v0, vcc_lo, s22, v0
	v_add_co_ci_u32_e32 v1, vcc_lo, s23, v1, vcc_lo
	global_store_b64 v[0:1], v[73:74], off
	s_or_b32 exec_lo, exec_lo, s0
	s_and_saveexec_b32 s0, s11
	s_cbranch_execz .LBB6_84
.LBB6_98:
	v_lshlrev_b64 v[0:1], 3, v[45:46]
	s_delay_alu instid0(VALU_DEP_1) | instskip(NEXT) | instid1(VALU_DEP_2)
	v_add_co_u32 v0, vcc_lo, s22, v0
	v_add_co_ci_u32_e32 v1, vcc_lo, s23, v1, vcc_lo
	global_store_b64 v[0:1], v[71:72], off
	s_or_b32 exec_lo, exec_lo, s0
	s_and_saveexec_b32 s0, s12
	s_cbranch_execz .LBB6_85
.LBB6_99:
	v_lshlrev_b64 v[0:1], 3, v[47:48]
	s_delay_alu instid0(VALU_DEP_1) | instskip(NEXT) | instid1(VALU_DEP_2)
	v_add_co_u32 v0, vcc_lo, s22, v0
	v_add_co_ci_u32_e32 v1, vcc_lo, s23, v1, vcc_lo
	global_store_b64 v[0:1], v[67:68], off
	s_or_b32 exec_lo, exec_lo, s0
	s_and_saveexec_b32 s0, s13
	s_cbranch_execz .LBB6_86
.LBB6_100:
	v_lshlrev_b64 v[0:1], 3, v[49:50]
	s_delay_alu instid0(VALU_DEP_1) | instskip(NEXT) | instid1(VALU_DEP_2)
	v_add_co_u32 v0, vcc_lo, s22, v0
	v_add_co_ci_u32_e32 v1, vcc_lo, s23, v1, vcc_lo
	global_store_b64 v[0:1], v[65:66], off
	s_or_b32 exec_lo, exec_lo, s0
	s_and_saveexec_b32 s0, s14
	s_cbranch_execz .LBB6_87
.LBB6_101:
	v_lshlrev_b64 v[0:1], 3, v[51:52]
	s_delay_alu instid0(VALU_DEP_1) | instskip(NEXT) | instid1(VALU_DEP_2)
	v_add_co_u32 v0, vcc_lo, s22, v0
	v_add_co_ci_u32_e32 v1, vcc_lo, s23, v1, vcc_lo
	global_store_b64 v[0:1], v[63:64], off
	s_or_b32 exec_lo, exec_lo, s0
	s_and_saveexec_b32 s0, s15
	s_cbranch_execz .LBB6_88
.LBB6_102:
	v_lshlrev_b64 v[0:1], 3, v[53:54]
	s_delay_alu instid0(VALU_DEP_1) | instskip(NEXT) | instid1(VALU_DEP_2)
	v_add_co_u32 v0, vcc_lo, s22, v0
	v_add_co_ci_u32_e32 v1, vcc_lo, s23, v1, vcc_lo
	global_store_b64 v[0:1], v[59:60], off
	s_or_b32 exec_lo, exec_lo, s0
	s_delay_alu instid0(SALU_CYCLE_1)
	s_and_b32 exec_lo, exec_lo, s16
	s_cbranch_execz .LBB6_69
.LBB6_103:
	v_lshlrev_b64 v[0:1], 3, v[55:56]
	s_delay_alu instid0(VALU_DEP_1) | instskip(NEXT) | instid1(VALU_DEP_2)
	v_add_co_u32 v0, vcc_lo, s22, v0
	v_add_co_ci_u32_e32 v1, vcc_lo, s23, v1, vcc_lo
	global_store_b64 v[0:1], v[57:58], off
	s_nop 0
	s_sendmsg sendmsg(MSG_DEALLOC_VGPRS)
	s_endpgm
	.section	.rodata,"a",@progbits
	.p2align	6, 0x0
	.amdhsa_kernel _ZN8rajaperf9algorithm11scan_customILm256ELm15EEEvPdS2_S2_S2_Pjl
		.amdhsa_group_segment_fixed_size 30720
		.amdhsa_private_segment_fixed_size 0
		.amdhsa_kernarg_size 304
		.amdhsa_user_sgpr_count 15
		.amdhsa_user_sgpr_dispatch_ptr 0
		.amdhsa_user_sgpr_queue_ptr 0
		.amdhsa_user_sgpr_kernarg_segment_ptr 1
		.amdhsa_user_sgpr_dispatch_id 0
		.amdhsa_user_sgpr_private_segment_size 0
		.amdhsa_wavefront_size32 1
		.amdhsa_uses_dynamic_stack 0
		.amdhsa_enable_private_segment 0
		.amdhsa_system_sgpr_workgroup_id_x 1
		.amdhsa_system_sgpr_workgroup_id_y 0
		.amdhsa_system_sgpr_workgroup_id_z 0
		.amdhsa_system_sgpr_workgroup_info 0
		.amdhsa_system_vgpr_workitem_id 0
		.amdhsa_next_free_vgpr 92
		.amdhsa_next_free_sgpr 32
		.amdhsa_reserve_vcc 1
		.amdhsa_float_round_mode_32 0
		.amdhsa_float_round_mode_16_64 0
		.amdhsa_float_denorm_mode_32 3
		.amdhsa_float_denorm_mode_16_64 3
		.amdhsa_dx10_clamp 1
		.amdhsa_ieee_mode 1
		.amdhsa_fp16_overflow 0
		.amdhsa_workgroup_processor_mode 1
		.amdhsa_memory_ordered 1
		.amdhsa_forward_progress 0
		.amdhsa_shared_vgpr_count 0
		.amdhsa_exception_fp_ieee_invalid_op 0
		.amdhsa_exception_fp_denorm_src 0
		.amdhsa_exception_fp_ieee_div_zero 0
		.amdhsa_exception_fp_ieee_overflow 0
		.amdhsa_exception_fp_ieee_underflow 0
		.amdhsa_exception_fp_ieee_inexact 0
		.amdhsa_exception_int_div_zero 0
	.end_amdhsa_kernel
	.section	.text._ZN8rajaperf9algorithm11scan_customILm256ELm15EEEvPdS2_S2_S2_Pjl,"axG",@progbits,_ZN8rajaperf9algorithm11scan_customILm256ELm15EEEvPdS2_S2_S2_Pjl,comdat
.Lfunc_end6:
	.size	_ZN8rajaperf9algorithm11scan_customILm256ELm15EEEvPdS2_S2_S2_Pjl, .Lfunc_end6-_ZN8rajaperf9algorithm11scan_customILm256ELm15EEEvPdS2_S2_S2_Pjl
                                        ; -- End function
	.section	.AMDGPU.csdata,"",@progbits
; Kernel info:
; codeLenInByte = 4396
; NumSgprs: 34
; NumVgprs: 92
; ScratchSize: 0
; MemoryBound: 0
; FloatMode: 240
; IeeeMode: 1
; LDSByteSize: 30720 bytes/workgroup (compile time only)
; SGPRBlocks: 4
; VGPRBlocks: 11
; NumSGPRsForWavesPerEU: 34
; NumVGPRsForWavesPerEU: 92
; Occupancy: 8
; WaveLimiterHint : 0
; COMPUTE_PGM_RSRC2:SCRATCH_EN: 0
; COMPUTE_PGM_RSRC2:USER_SGPR: 15
; COMPUTE_PGM_RSRC2:TRAP_HANDLER: 0
; COMPUTE_PGM_RSRC2:TGID_X_EN: 1
; COMPUTE_PGM_RSRC2:TGID_Y_EN: 0
; COMPUTE_PGM_RSRC2:TGID_Z_EN: 0
; COMPUTE_PGM_RSRC2:TIDIG_COMP_CNT: 0
	.text
	.p2alignl 7, 3214868480
	.fill 96, 4, 3214868480
	.type	__hip_cuid_b3e3782149b37914,@object ; @__hip_cuid_b3e3782149b37914
	.section	.bss,"aw",@nobits
	.globl	__hip_cuid_b3e3782149b37914
__hip_cuid_b3e3782149b37914:
	.byte	0                               ; 0x0
	.size	__hip_cuid_b3e3782149b37914, 1

	.ident	"AMD clang version 19.0.0git (https://github.com/RadeonOpenCompute/llvm-project roc-6.4.0 25133 c7fe45cf4b819c5991fe208aaa96edf142730f1d)"
	.section	".note.GNU-stack","",@progbits
	.addrsig
	.addrsig_sym __hip_cuid_b3e3782149b37914
	.amdgpu_metadata
---
amdhsa.kernels:
  - .args:
      - .address_space:  global
        .offset:         0
        .size:           8
        .value_kind:     global_buffer
      - .offset:         8
        .size:           4
        .value_kind:     by_value
      - .offset:         12
        .size:           4
        .value_kind:     by_value
      - .address_space:  global
        .offset:         16
        .size:           8
        .value_kind:     global_buffer
      - .offset:         24
        .size:           4
        .value_kind:     hidden_block_count_x
      - .offset:         28
        .size:           4
        .value_kind:     hidden_block_count_y
      - .offset:         32
        .size:           4
        .value_kind:     hidden_block_count_z
      - .offset:         36
        .size:           2
        .value_kind:     hidden_group_size_x
      - .offset:         38
        .size:           2
        .value_kind:     hidden_group_size_y
      - .offset:         40
        .size:           2
        .value_kind:     hidden_group_size_z
      - .offset:         42
        .size:           2
        .value_kind:     hidden_remainder_x
      - .offset:         44
        .size:           2
        .value_kind:     hidden_remainder_y
      - .offset:         46
        .size:           2
        .value_kind:     hidden_remainder_z
      - .offset:         64
        .size:           8
        .value_kind:     hidden_global_offset_x
      - .offset:         72
        .size:           8
        .value_kind:     hidden_global_offset_y
      - .offset:         80
        .size:           8
        .value_kind:     hidden_global_offset_z
      - .offset:         88
        .size:           2
        .value_kind:     hidden_grid_dims
    .group_segment_fixed_size: 0
    .kernarg_segment_align: 8
    .kernarg_segment_size: 280
    .language:       OpenCL C
    .language_version:
      - 2
      - 0
    .max_flat_workgroup_size: 256
    .name:           _ZN7rocprim6detail31init_lookback_scan_state_kernelINS0_19lookback_scan_stateIdLb1ELb1EEEEEvT_jjPNS4_10value_typeE
    .private_segment_fixed_size: 0
    .sgpr_count:     18
    .sgpr_spill_count: 0
    .symbol:         _ZN7rocprim6detail31init_lookback_scan_state_kernelINS0_19lookback_scan_stateIdLb1ELb1EEEEEvT_jjPNS4_10value_typeE.kd
    .uniform_work_group_size: 1
    .uses_dynamic_stack: false
    .vgpr_count:     9
    .vgpr_spill_count: 0
    .wavefront_size: 32
    .workgroup_processor_mode: 1
  - .args:
      - .address_space:  global
        .offset:         0
        .size:           8
        .value_kind:     global_buffer
      - .offset:         8
        .size:           4
        .value_kind:     by_value
      - .offset:         12
        .size:           4
        .value_kind:     by_value
      - .address_space:  global
        .offset:         16
        .size:           8
        .value_kind:     global_buffer
      - .offset:         24
        .size:           4
        .value_kind:     hidden_block_count_x
      - .offset:         28
        .size:           4
        .value_kind:     hidden_block_count_y
      - .offset:         32
        .size:           4
        .value_kind:     hidden_block_count_z
      - .offset:         36
        .size:           2
        .value_kind:     hidden_group_size_x
      - .offset:         38
        .size:           2
        .value_kind:     hidden_group_size_y
      - .offset:         40
        .size:           2
        .value_kind:     hidden_group_size_z
      - .offset:         42
        .size:           2
        .value_kind:     hidden_remainder_x
      - .offset:         44
        .size:           2
        .value_kind:     hidden_remainder_y
      - .offset:         46
        .size:           2
        .value_kind:     hidden_remainder_z
      - .offset:         64
        .size:           8
        .value_kind:     hidden_global_offset_x
      - .offset:         72
        .size:           8
        .value_kind:     hidden_global_offset_y
      - .offset:         80
        .size:           8
        .value_kind:     hidden_global_offset_z
      - .offset:         88
        .size:           2
        .value_kind:     hidden_grid_dims
    .group_segment_fixed_size: 0
    .kernarg_segment_align: 8
    .kernarg_segment_size: 280
    .language:       OpenCL C
    .language_version:
      - 2
      - 0
    .max_flat_workgroup_size: 256
    .name:           _ZN7rocprim6detail31init_lookback_scan_state_kernelINS0_19lookback_scan_stateIdLb0ELb1EEEEEvT_jjPNS4_10value_typeE
    .private_segment_fixed_size: 0
    .sgpr_count:     18
    .sgpr_spill_count: 0
    .symbol:         _ZN7rocprim6detail31init_lookback_scan_state_kernelINS0_19lookback_scan_stateIdLb0ELb1EEEEEvT_jjPNS4_10value_typeE.kd
    .uniform_work_group_size: 1
    .uses_dynamic_stack: false
    .vgpr_count:     9
    .vgpr_spill_count: 0
    .wavefront_size: 32
    .workgroup_processor_mode: 1
  - .args:
      - .address_space:  global
        .offset:         0
        .size:           8
        .value_kind:     global_buffer
      - .address_space:  global
        .offset:         8
        .size:           8
        .value_kind:     global_buffer
      - .offset:         16
        .size:           8
        .value_kind:     by_value
      - .offset:         24
        .size:           8
        .value_kind:     by_value
      - .offset:         32
        .size:           1
        .value_kind:     by_value
      - .address_space:  global
        .offset:         40
        .size:           8
        .value_kind:     global_buffer
      - .offset:         48
        .size:           4
        .value_kind:     by_value
      - .address_space:  global
        .offset:         56
        .size:           8
        .value_kind:     global_buffer
      - .address_space:  global
        .offset:         64
        .size:           8
        .value_kind:     global_buffer
      - .offset:         72
        .size:           1
        .value_kind:     by_value
      - .offset:         73
        .size:           1
        .value_kind:     by_value
    .group_segment_fixed_size: 0
    .kernarg_segment_align: 8
    .kernarg_segment_size: 76
    .language:       OpenCL C
    .language_version:
      - 2
      - 0
    .max_flat_workgroup_size: 256
    .name:           _ZN7rocprim6detail20lookback_scan_kernelILNS0_25lookback_scan_determinismE0ELb1ENS0_19wrapped_scan_configINS_14default_configEdEEPdS6_N4RAJA9operators4plusIdddEEddNS0_19lookback_scan_stateIdLb1ELb1EEEEEvT2_T3_mT5_T4_T7_jPT6_SJ_bb
    .private_segment_fixed_size: 0
    .sgpr_count:     0
    .sgpr_spill_count: 0
    .symbol:         _ZN7rocprim6detail20lookback_scan_kernelILNS0_25lookback_scan_determinismE0ELb1ENS0_19wrapped_scan_configINS_14default_configEdEEPdS6_N4RAJA9operators4plusIdddEEddNS0_19lookback_scan_stateIdLb1ELb1EEEEEvT2_T3_mT5_T4_T7_jPT6_SJ_bb.kd
    .uniform_work_group_size: 1
    .uses_dynamic_stack: false
    .vgpr_count:     0
    .vgpr_spill_count: 0
    .wavefront_size: 32
    .workgroup_processor_mode: 1
  - .args:
      - .address_space:  global
        .offset:         0
        .size:           8
        .value_kind:     global_buffer
      - .address_space:  global
        .offset:         8
        .size:           8
        .value_kind:     global_buffer
      - .offset:         16
        .size:           8
        .value_kind:     by_value
      - .offset:         24
        .size:           8
        .value_kind:     by_value
      - .offset:         32
        .size:           1
        .value_kind:     by_value
      - .address_space:  global
        .offset:         40
        .size:           8
        .value_kind:     global_buffer
      - .offset:         48
        .size:           4
        .value_kind:     by_value
      - .address_space:  global
        .offset:         56
        .size:           8
        .value_kind:     global_buffer
      - .address_space:  global
        .offset:         64
        .size:           8
        .value_kind:     global_buffer
      - .offset:         72
        .size:           1
        .value_kind:     by_value
      - .offset:         73
        .size:           1
        .value_kind:     by_value
    .group_segment_fixed_size: 33792
    .kernarg_segment_align: 8
    .kernarg_segment_size: 76
    .language:       OpenCL C
    .language_version:
      - 2
      - 0
    .max_flat_workgroup_size: 256
    .name:           _ZN7rocprim6detail20lookback_scan_kernelILNS0_25lookback_scan_determinismE0ELb1ENS0_19wrapped_scan_configINS_14default_configEdEEPdS6_N4RAJA9operators4plusIdddEEddNS0_19lookback_scan_stateIdLb0ELb1EEEEEvT2_T3_mT5_T4_T7_jPT6_SJ_bb
    .private_segment_fixed_size: 0
    .sgpr_count:     70
    .sgpr_spill_count: 0
    .symbol:         _ZN7rocprim6detail20lookback_scan_kernelILNS0_25lookback_scan_determinismE0ELb1ENS0_19wrapped_scan_configINS_14default_configEdEEPdS6_N4RAJA9operators4plusIdddEEddNS0_19lookback_scan_stateIdLb0ELb1EEEEEvT2_T3_mT5_T4_T7_jPT6_SJ_bb.kd
    .uniform_work_group_size: 1
    .uses_dynamic_stack: false
    .vgpr_count:     96
    .vgpr_spill_count: 0
    .wavefront_size: 32
    .workgroup_processor_mode: 1
  - .args:
      - .address_space:  global
        .offset:         0
        .size:           8
        .value_kind:     global_buffer
      - .offset:         8
        .size:           8
        .value_kind:     by_value
      - .address_space:  global
        .offset:         16
        .size:           8
        .value_kind:     global_buffer
      - .offset:         24
        .size:           1
        .value_kind:     by_value
      - .offset:         32
        .size:           4
        .value_kind:     hidden_block_count_x
      - .offset:         36
        .size:           4
        .value_kind:     hidden_block_count_y
      - .offset:         40
        .size:           4
        .value_kind:     hidden_block_count_z
      - .offset:         44
        .size:           2
        .value_kind:     hidden_group_size_x
      - .offset:         46
        .size:           2
        .value_kind:     hidden_group_size_y
      - .offset:         48
        .size:           2
        .value_kind:     hidden_group_size_z
      - .offset:         50
        .size:           2
        .value_kind:     hidden_remainder_x
      - .offset:         52
        .size:           2
        .value_kind:     hidden_remainder_y
      - .offset:         54
        .size:           2
        .value_kind:     hidden_remainder_z
      - .offset:         72
        .size:           8
        .value_kind:     hidden_global_offset_x
      - .offset:         80
        .size:           8
        .value_kind:     hidden_global_offset_y
      - .offset:         88
        .size:           8
        .value_kind:     hidden_global_offset_z
      - .offset:         96
        .size:           2
        .value_kind:     hidden_grid_dims
    .group_segment_fixed_size: 0
    .kernarg_segment_align: 8
    .kernarg_segment_size: 288
    .language:       OpenCL C
    .language_version:
      - 2
      - 0
    .max_flat_workgroup_size: 512
    .name:           _ZN7rocprim6detail16transform_kernelINS0_24wrapped_transform_configINS_14default_configEdEEdPdS5_NS_8identityIdEEEEvT1_mT2_T3_
    .private_segment_fixed_size: 0
    .sgpr_count:     18
    .sgpr_spill_count: 0
    .symbol:         _ZN7rocprim6detail16transform_kernelINS0_24wrapped_transform_configINS_14default_configEdEEdPdS5_NS_8identityIdEEEEvT1_mT2_T3_.kd
    .uniform_work_group_size: 1
    .uses_dynamic_stack: false
    .vgpr_count:     5
    .vgpr_spill_count: 0
    .wavefront_size: 32
    .workgroup_processor_mode: 1
  - .args:
      - .address_space:  global
        .offset:         0
        .size:           8
        .value_kind:     global_buffer
      - .offset:         8
        .size:           8
        .value_kind:     by_value
      - .offset:         16
        .size:           8
        .value_kind:     by_value
      - .address_space:  global
        .offset:         24
        .size:           8
        .value_kind:     global_buffer
      - .offset:         32
        .size:           1
        .value_kind:     by_value
    .group_segment_fixed_size: 33792
    .kernarg_segment_align: 8
    .kernarg_segment_size: 36
    .language:       OpenCL C
    .language_version:
      - 2
      - 0
    .max_flat_workgroup_size: 256
    .name:           _ZN7rocprim6detail18single_scan_kernelILb1ENS0_19wrapped_scan_configINS_14default_configEdEEPdS5_N4RAJA9operators4plusIdddEEddEEvT1_mT4_T2_T3_
    .private_segment_fixed_size: 0
    .sgpr_count:     46
    .sgpr_spill_count: 0
    .symbol:         _ZN7rocprim6detail18single_scan_kernelILb1ENS0_19wrapped_scan_configINS_14default_configEdEEPdS5_N4RAJA9operators4plusIdddEEddEEvT1_mT4_T2_T3_.kd
    .uniform_work_group_size: 1
    .uses_dynamic_stack: false
    .vgpr_count:     58
    .vgpr_spill_count: 0
    .wavefront_size: 32
    .workgroup_processor_mode: 1
  - .args:
      - .address_space:  global
        .offset:         0
        .size:           8
        .value_kind:     global_buffer
      - .address_space:  global
        .offset:         8
        .size:           8
        .value_kind:     global_buffer
      - .address_space:  global
        .offset:         16
        .size:           8
        .value_kind:     global_buffer
      - .address_space:  global
        .offset:         24
        .size:           8
        .value_kind:     global_buffer
      - .address_space:  global
        .offset:         32
        .size:           8
        .value_kind:     global_buffer
      - .offset:         40
        .size:           8
        .value_kind:     by_value
      - .offset:         48
        .size:           4
        .value_kind:     hidden_block_count_x
      - .offset:         52
        .size:           4
        .value_kind:     hidden_block_count_y
      - .offset:         56
        .size:           4
        .value_kind:     hidden_block_count_z
      - .offset:         60
        .size:           2
        .value_kind:     hidden_group_size_x
      - .offset:         62
        .size:           2
        .value_kind:     hidden_group_size_y
      - .offset:         64
        .size:           2
        .value_kind:     hidden_group_size_z
      - .offset:         66
        .size:           2
        .value_kind:     hidden_remainder_x
      - .offset:         68
        .size:           2
        .value_kind:     hidden_remainder_y
      - .offset:         70
        .size:           2
        .value_kind:     hidden_remainder_z
      - .offset:         88
        .size:           8
        .value_kind:     hidden_global_offset_x
      - .offset:         96
        .size:           8
        .value_kind:     hidden_global_offset_y
      - .offset:         104
        .size:           8
        .value_kind:     hidden_global_offset_z
      - .offset:         112
        .size:           2
        .value_kind:     hidden_grid_dims
    .group_segment_fixed_size: 30720
    .kernarg_segment_align: 8
    .kernarg_segment_size: 304
    .language:       OpenCL C
    .language_version:
      - 2
      - 0
    .max_flat_workgroup_size: 256
    .name:           _ZN8rajaperf9algorithm11scan_customILm256ELm15EEEvPdS2_S2_S2_Pjl
    .private_segment_fixed_size: 0
    .sgpr_count:     34
    .sgpr_spill_count: 0
    .symbol:         _ZN8rajaperf9algorithm11scan_customILm256ELm15EEEvPdS2_S2_S2_Pjl.kd
    .uniform_work_group_size: 1
    .uses_dynamic_stack: false
    .vgpr_count:     92
    .vgpr_spill_count: 0
    .wavefront_size: 32
    .workgroup_processor_mode: 1
amdhsa.target:   amdgcn-amd-amdhsa--gfx1100
amdhsa.version:
  - 1
  - 2
...

	.end_amdgpu_metadata
